;; amdgpu-corpus repo=ROCm/rocFFT kind=compiled arch=gfx950 opt=O3
	.text
	.amdgcn_target "amdgcn-amd-amdhsa--gfx950"
	.amdhsa_code_object_version 6
	.protected	bluestein_single_fwd_len198_dim1_sp_op_CI_CI ; -- Begin function bluestein_single_fwd_len198_dim1_sp_op_CI_CI
	.globl	bluestein_single_fwd_len198_dim1_sp_op_CI_CI
	.p2align	8
	.type	bluestein_single_fwd_len198_dim1_sp_op_CI_CI,@function
bluestein_single_fwd_len198_dim1_sp_op_CI_CI: ; @bluestein_single_fwd_len198_dim1_sp_op_CI_CI
; %bb.0:
	s_load_dwordx4 s[8:11], s[0:1], 0x28
	v_mul_u32_u24_e32 v1, 0xba3, v0
	v_lshrrev_b32_e32 v2, 16, v1
	v_mad_u64_u32 v[38:39], s[2:3], s2, 5, v[2:3]
	v_mov_b32_e32 v37, 0
	v_mov_b32_e32 v39, v37
	s_waitcnt lgkmcnt(0)
	v_cmp_gt_u64_e32 vcc, s[8:9], v[38:39]
	s_and_saveexec_b64 s[2:3], vcc
	s_cbranch_execz .LBB0_23
; %bb.1:
	v_mul_lo_u16_e32 v1, 22, v2
	s_mov_b32 s2, 0xcccccccd
	v_sub_u16_e32 v36, v0, v1
	v_mul_hi_u32 v0, v38, s2
	s_load_dwordx2 s[8:9], s[0:1], 0x0
	s_load_dwordx2 s[12:13], s[0:1], 0x38
	v_lshrrev_b32_e32 v0, 2, v0
	v_lshl_add_u32 v0, v0, 2, v0
	v_sub_u32_e32 v0, v38, v0
	v_mul_u32_u24_e32 v112, 0xc6, v0
	v_cmp_gt_u16_e32 vcc, 18, v36
	v_lshlrev_b32_e32 v39, 3, v36
	v_lshlrev_b32_e32 v116, 3, v112
	s_and_saveexec_b64 s[2:3], vcc
	s_cbranch_execz .LBB0_3
; %bb.2:
	s_load_dwordx2 s[4:5], s[0:1], 0x18
	v_mov_b32_e32 v0, s10
	v_mov_b32_e32 v1, s11
	;; [unrolled: 1-line block ×3, first 2 shown]
	v_lshl_add_u32 v50, v36, 3, v116
	s_waitcnt lgkmcnt(0)
	s_load_dwordx4 s[4:7], s[4:5], 0x0
	v_add_u32_e32 v51, v116, v39
	s_waitcnt lgkmcnt(0)
	v_mad_u64_u32 v[2:3], s[10:11], s6, v38, 0
	v_mad_u64_u32 v[4:5], s[10:11], s4, v36, 0
	v_mov_b32_e32 v6, v3
	v_mov_b32_e32 v8, v5
	v_mad_u64_u32 v[6:7], s[6:7], s7, v38, v[6:7]
	v_mov_b32_e32 v3, v6
	v_mad_u64_u32 v[6:7], s[6:7], s5, v36, v[8:9]
	v_mov_b32_e32 v5, v6
	v_lshl_add_u64 v[0:1], v[2:3], 3, v[0:1]
	v_lshl_add_u64 v[0:1], v[4:5], 3, v[0:1]
	global_load_dwordx2 v[2:3], v[0:1], off
	v_mad_u64_u32 v[0:1], s[6:7], s4, v46, v[0:1]
	s_mul_i32 s10, s5, 0x90
	v_add_u32_e32 v1, s10, v1
	global_load_dwordx2 v[4:5], v[0:1], off
	global_load_dwordx2 v[6:7], v39, s[8:9]
	v_mad_u64_u32 v[0:1], s[6:7], s4, v46, v[0:1]
	v_add_u32_e32 v1, s10, v1
	v_mad_u64_u32 v[8:9], s[6:7], s4, v46, v[0:1]
	v_add_u32_e32 v9, s10, v9
	global_load_dwordx2 v[10:11], v39, s[8:9] offset:144
	global_load_dwordx2 v[12:13], v39, s[8:9] offset:288
	;; [unrolled: 1-line block ×3, first 2 shown]
	global_load_dwordx2 v[16:17], v[0:1], off
	v_mad_u64_u32 v[0:1], s[6:7], s4, v46, v[8:9]
	v_add_u32_e32 v1, s10, v1
	global_load_dwordx2 v[18:19], v[8:9], off
	global_load_dwordx2 v[20:21], v[0:1], off
	v_mad_u64_u32 v[0:1], s[6:7], s4, v46, v[0:1]
	v_add_u32_e32 v1, s10, v1
	global_load_dwordx2 v[8:9], v39, s[8:9] offset:576
	global_load_dwordx2 v[22:23], v[0:1], off
	v_mad_u64_u32 v[0:1], s[6:7], s4, v46, v[0:1]
	v_add_u32_e32 v1, s10, v1
	global_load_dwordx2 v[24:25], v39, s[8:9] offset:720
	global_load_dwordx2 v[26:27], v[0:1], off
	v_mad_u64_u32 v[0:1], s[6:7], s4, v46, v[0:1]
	v_add_u32_e32 v1, s10, v1
	global_load_dwordx2 v[28:29], v39, s[8:9] offset:864
	global_load_dwordx2 v[30:31], v[0:1], off
	global_load_dwordx2 v[32:33], v39, s[8:9] offset:1008
	v_mad_u64_u32 v[0:1], s[6:7], s4, v46, v[0:1]
	v_add_u32_e32 v1, s10, v1
	global_load_dwordx2 v[34:35], v[0:1], off
	global_load_dwordx2 v[40:41], v39, s[8:9] offset:1152
	v_mad_u64_u32 v[0:1], s[6:7], s4, v46, v[0:1]
	v_add_u32_e32 v1, s10, v1
	global_load_dwordx2 v[42:43], v[0:1], off
	global_load_dwordx2 v[44:45], v39, s[8:9] offset:1296
	v_mad_u64_u32 v[0:1], s[4:5], s4, v46, v[0:1]
	v_add_u32_e32 v1, s10, v1
	global_load_dwordx2 v[46:47], v39, s[8:9] offset:1440
	global_load_dwordx2 v[48:49], v[0:1], off
	s_waitcnt vmcnt(19)
	v_mul_f32_e32 v0, v3, v7
	v_mul_f32_e32 v1, v2, v7
	v_fmac_f32_e32 v0, v2, v6
	v_fma_f32 v1, v3, v6, -v1
	ds_write_b64 v50, v[0:1]
	s_waitcnt vmcnt(18)
	v_mul_f32_e32 v0, v5, v11
	v_mul_f32_e32 v1, v4, v11
	s_waitcnt vmcnt(15)
	v_mul_f32_e32 v2, v17, v13
	v_mul_f32_e32 v3, v16, v13
	v_fmac_f32_e32 v0, v4, v10
	v_fma_f32 v1, v5, v10, -v1
	v_fmac_f32_e32 v2, v16, v12
	v_fma_f32 v3, v17, v12, -v3
	ds_write2_b64 v51, v[0:1], v[2:3] offset0:18 offset1:36
	s_waitcnt vmcnt(14)
	v_mul_f32_e32 v0, v19, v15
	v_mul_f32_e32 v1, v18, v15
	s_waitcnt vmcnt(12)
	v_mul_f32_e32 v2, v21, v9
	v_mul_f32_e32 v3, v20, v9
	v_fmac_f32_e32 v0, v18, v14
	v_fma_f32 v1, v19, v14, -v1
	v_fmac_f32_e32 v2, v20, v8
	v_fma_f32 v3, v21, v8, -v3
	ds_write2_b64 v51, v[0:1], v[2:3] offset0:54 offset1:72
	;; [unrolled: 11-line block ×5, first 2 shown]
.LBB0_3:
	s_or_b64 exec, exec, s[2:3]
	v_mov_b64_e32 v[4:5], 0
	s_waitcnt lgkmcnt(0)
	s_barrier
	s_waitcnt lgkmcnt(0)
                                        ; implicit-def: $vgpr12
                                        ; implicit-def: $vgpr18
                                        ; implicit-def: $vgpr24
                                        ; implicit-def: $vgpr22
                                        ; implicit-def: $vgpr40
	s_and_saveexec_b64 s[2:3], vcc
	s_cbranch_execz .LBB0_5
; %bb.4:
	v_lshl_add_u32 v0, v112, 3, v39
	ds_read2_b64 v[4:7], v0 offset1:18
	ds_read2_b64 v[20:23], v0 offset0:36 offset1:54
	ds_read2_b64 v[16:19], v0 offset0:72 offset1:90
	;; [unrolled: 1-line block ×4, first 2 shown]
	ds_read_b64 v[40:41], v0 offset:1440
.LBB0_5:
	s_or_b64 exec, exec, s[2:3]
	s_waitcnt lgkmcnt(0)
	v_pk_add_f32 v[32:33], v[6:7], v[40:41] neg_lo:[0,1] neg_hi:[0,1]
	s_mov_b32 s6, 0xbf7d64f0
	v_pk_add_f32 v[0:1], v[40:41], v[6:7]
	s_mov_b32 s2, 0xbe11bafb
	v_pk_mul_f32 v[2:3], v[32:33], s[6:7] op_sel_hi:[1,0]
	v_pk_add_f32 v[34:35], v[20:21], v[26:27] neg_lo:[0,1] neg_hi:[0,1]
	s_mov_b32 s10, 0x3e903f40
	v_pk_fma_f32 v[52:53], v[0:1], s[2:3], v[2:3] op_sel:[0,0,1] op_sel_hi:[1,0,0]
	v_pk_fma_f32 v[42:43], v[0:1], s[2:3], v[2:3] op_sel:[0,0,1] op_sel_hi:[1,0,0] neg_lo:[0,0,1] neg_hi:[0,0,1]
	v_pk_add_f32 v[30:31], v[26:27], v[20:21]
	s_mov_b32 s16, 0xbf75a155
	v_pk_mul_f32 v[8:9], v[34:35], s[10:11] op_sel_hi:[1,0]
	v_mov_b32_e32 v2, v52
	v_mov_b32_e32 v3, v43
	v_pk_fma_f32 v[48:49], v[30:31], s[16:17], v[8:9] op_sel:[0,0,1] op_sel_hi:[1,0,0]
	v_pk_fma_f32 v[50:51], v[30:31], s[16:17], v[8:9] op_sel:[0,0,1] op_sel_hi:[1,0,0] neg_lo:[0,0,1] neg_hi:[0,0,1]
	v_pk_add_f32 v[58:59], v[22:23], v[24:25] neg_lo:[0,1] neg_hi:[0,1]
	v_pk_add_f32 v[2:3], v[2:3], v[4:5]
	v_mov_b32_e32 v8, v48
	v_mov_b32_e32 v9, v51
	s_mov_b32 s20, 0x3f68dda4
	v_pk_add_f32 v[28:29], v[24:25], v[22:23]
	s_mov_b32 s14, 0x3ed4b147
	v_pk_add_f32 v[2:3], v[8:9], v[2:3]
	v_pk_mul_f32 v[8:9], v[58:59], s[20:21] op_sel:[1,0] op_sel_hi:[0,0]
	v_pk_fma_f32 v[54:55], v[28:29], s[14:15], v[8:9] op_sel_hi:[1,0,1]
	v_pk_fma_f32 v[56:57], v[28:29], s[14:15], v[8:9] op_sel_hi:[1,0,1] neg_lo:[0,0,1] neg_hi:[0,0,1]
	s_mov_b32 s4, 0xbf68dda4
	v_mov_b32_e32 v8, v54
	v_mov_b32_e32 v9, v57
	v_pk_add_f32 v[2:3], v[8:9], v[2:3]
	s_mov_b32 s22, 0xbf4178ce
	v_pk_mul_f32 v[8:9], v[32:33], s[4:5] op_sel_hi:[1,0]
	s_mov_b32 s18, 0xbf27a4f4
	v_pk_fma_f32 v[60:61], v[0:1], s[14:15], v[8:9] op_sel:[0,0,1] op_sel_hi:[1,0,0]
	v_pk_fma_f32 v[62:63], v[0:1], s[14:15], v[8:9] op_sel:[0,0,1] op_sel_hi:[1,0,0] neg_lo:[0,0,1] neg_hi:[0,0,1]
	v_pk_mul_f32 v[10:11], v[34:35], s[22:23] op_sel_hi:[1,0]
	v_mov_b32_e32 v8, v60
	v_mov_b32_e32 v9, v63
	v_pk_fma_f32 v[64:65], v[30:31], s[18:19], v[10:11] op_sel:[0,0,1] op_sel_hi:[1,0,0]
	v_pk_fma_f32 v[66:67], v[30:31], s[18:19], v[10:11] op_sel:[0,0,1] op_sel_hi:[1,0,0] neg_lo:[0,0,1] neg_hi:[0,0,1]
	v_mov_b32_e32 v10, v64
	v_mov_b32_e32 v11, v67
	v_pk_add_f32 v[8:9], v[8:9], v[4:5]
	s_mov_b32 s28, 0x3f7d64f0
	v_pk_add_f32 v[8:9], v[10:11], v[8:9]
	v_pk_mul_f32 v[10:11], v[58:59], s[10:11] op_sel:[1,0] op_sel_hi:[0,0]
	v_pk_fma_f32 v[72:73], v[28:29], s[16:17], v[10:11] op_sel_hi:[1,0,1]
	v_pk_fma_f32 v[74:75], v[28:29], s[16:17], v[10:11] op_sel_hi:[1,0,1] neg_lo:[0,0,1] neg_hi:[0,0,1]
	v_mov_b32_e32 v10, v72
	v_mov_b32_e32 v11, v75
	v_pk_add_f32 v[88:89], v[16:17], v[14:15] neg_lo:[0,1] neg_hi:[0,1]
	v_pk_add_f32 v[8:9], v[10:11], v[8:9]
	v_pk_add_f32 v[44:45], v[14:15], v[16:17]
	v_pk_mul_f32 v[10:11], v[88:89], s[28:29] op_sel:[1,0] op_sel_hi:[0,0]
	v_pk_fma_f32 v[76:77], v[44:45], s[2:3], v[10:11] op_sel_hi:[1,0,1]
	v_pk_fma_f32 v[78:79], v[44:45], s[2:3], v[10:11] op_sel_hi:[1,0,1] neg_lo:[0,0,1] neg_hi:[0,0,1]
	v_mov_b32_e32 v10, v76
	v_mov_b32_e32 v11, v79
	s_mov_b32 s30, 0xbf0a6770
	v_pk_add_f32 v[8:9], v[10:11], v[8:9]
	s_mov_b32 s24, 0x3f575c64
	v_pk_mul_f32 v[10:11], v[88:89], s[30:31] op_sel:[1,0] op_sel_hi:[0,0]
	v_pk_fma_f32 v[68:69], v[44:45], s[24:25], v[10:11] op_sel_hi:[1,0,1]
	v_pk_fma_f32 v[70:71], v[44:45], s[24:25], v[10:11] op_sel_hi:[1,0,1] neg_lo:[0,0,1] neg_hi:[0,0,1]
	v_mov_b32_e32 v10, v68
	v_mov_b32_e32 v11, v71
	s_mov_b32 s26, 0x3f0a6770
	v_pk_add_f32 v[90:91], v[18:19], v[12:13] neg_lo:[0,1] neg_hi:[0,1]
	v_pk_add_f32 v[2:3], v[10:11], v[2:3]
	v_pk_add_f32 v[46:47], v[12:13], v[18:19]
	v_pk_mul_f32 v[10:11], v[90:91], s[26:27] op_sel:[1,0] op_sel_hi:[0,0]
	v_pk_fma_f32 v[84:85], v[46:47], s[24:25], v[10:11] op_sel_hi:[1,0,1]
	v_pk_fma_f32 v[86:87], v[46:47], s[24:25], v[10:11] op_sel_hi:[1,0,1] neg_lo:[0,0,1] neg_hi:[0,0,1]
	v_mov_b32_e32 v10, v84
	v_mov_b32_e32 v11, v87
	v_pk_add_f32 v[10:11], v[10:11], v[8:9]
	v_pk_mul_f32 v[8:9], v[90:91], s[22:23] op_sel:[1,0] op_sel_hi:[0,0]
	v_pk_fma_f32 v[80:81], v[46:47], s[18:19], v[8:9] op_sel_hi:[1,0,1]
	v_pk_fma_f32 v[82:83], v[46:47], s[18:19], v[8:9] op_sel_hi:[1,0,1] neg_lo:[0,0,1] neg_hi:[0,0,1]
	v_mov_b32_e32 v8, v80
	v_mov_b32_e32 v9, v83
	v_pk_add_f32 v[8:9], v[8:9], v[2:3]
	v_pk_mul_f32 v[2:3], v[32:33], s[30:31] op_sel_hi:[1,0]
	v_pk_mul_f32 v[96:97], v[34:35], s[4:5] op_sel_hi:[1,0]
	v_pk_fma_f32 v[94:95], v[0:1], s[24:25], v[2:3] op_sel:[0,0,1] op_sel_hi:[1,0,0]
	v_pk_fma_f32 v[92:93], v[0:1], s[24:25], v[2:3] op_sel:[0,0,1] op_sel_hi:[1,0,0] neg_lo:[0,0,1] neg_hi:[0,0,1]
	v_mov_b32_e32 v2, v94
	v_mov_b32_e32 v3, v93
	v_pk_fma_f32 v[98:99], v[30:31], s[14:15], v[96:97] op_sel:[0,0,1] op_sel_hi:[1,0,0]
	v_pk_fma_f32 v[96:97], v[30:31], s[14:15], v[96:97] op_sel:[0,0,1] op_sel_hi:[1,0,0] neg_lo:[0,0,1] neg_hi:[0,0,1]
	v_pk_add_f32 v[2:3], v[2:3], v[4:5]
	v_mov_b32_e32 v100, v98
	v_mov_b32_e32 v101, v97
	v_pk_mul_f32 v[102:103], v[58:59], s[6:7] op_sel:[1,0] op_sel_hi:[0,0]
	v_pk_add_f32 v[2:3], v[100:101], v[2:3]
	v_pk_fma_f32 v[100:101], v[28:29], s[2:3], v[102:103] op_sel_hi:[1,0,1]
	v_pk_fma_f32 v[102:103], v[28:29], s[2:3], v[102:103] op_sel_hi:[1,0,1] neg_lo:[0,0,1] neg_hi:[0,0,1]
	v_mov_b32_e32 v104, v100
	v_mov_b32_e32 v105, v103
	v_pk_mul_f32 v[106:107], v[88:89], s[22:23] op_sel:[1,0] op_sel_hi:[0,0]
	v_pk_add_f32 v[2:3], v[104:105], v[2:3]
	v_pk_fma_f32 v[104:105], v[44:45], s[18:19], v[106:107] op_sel_hi:[1,0,1]
	v_pk_fma_f32 v[106:107], v[44:45], s[18:19], v[106:107] op_sel_hi:[1,0,1] neg_lo:[0,0,1] neg_hi:[0,0,1]
	s_load_dwordx2 s[4:5], s[0:1], 0x20
	s_load_dwordx2 s[10:11], s[0:1], 0x8
	s_mov_b32 s34, 0xbe903f40
	v_mov_b32_e32 v108, v104
	v_mov_b32_e32 v109, v107
	v_pk_mul_f32 v[110:111], v[90:91], s[34:35] op_sel:[1,0] op_sel_hi:[0,0]
	v_pk_add_f32 v[2:3], v[108:109], v[2:3]
	v_pk_fma_f32 v[108:109], v[46:47], s[16:17], v[110:111] op_sel_hi:[1,0,1]
	v_pk_fma_f32 v[110:111], v[46:47], s[16:17], v[110:111] op_sel_hi:[1,0,1] neg_lo:[0,0,1] neg_hi:[0,0,1]
	v_mov_b32_e32 v114, v108
	v_mov_b32_e32 v115, v111
	v_pk_add_f32 v[2:3], v[114:115], v[2:3]
	v_mul_lo_u16_e32 v121, 11, v36
	s_waitcnt lgkmcnt(0)
	s_barrier
	s_and_saveexec_b64 s[0:1], vcc
	s_cbranch_execz .LBB0_7
; %bb.6:
	v_pk_add_f32 v[6:7], v[6:7], v[4:5]
	v_mov_b32_e32 v93, v95
	v_pk_add_f32 v[6:7], v[20:21], v[6:7]
	v_mov_b32_e32 v97, v99
	;; [unrolled: 2-line block ×4, first 2 shown]
	v_pk_add_f32 v[6:7], v[18:19], v[6:7]
	v_pk_add_f32 v[18:19], v[92:93], v[4:5]
	;; [unrolled: 1-line block ×9, first 2 shown]
	v_mov_b32_e32 v111, v109
	v_mov_b32_e32 v13, v58
	;; [unrolled: 1-line block ×3, first 2 shown]
	v_pk_add_f32 v[6:7], v[40:41], v[6:7]
	v_add_lshl_u32 v58, v112, v121, 3
	v_pk_add_f32 v[18:19], v[110:111], v[18:19]
	v_mov_b32_e32 v63, v61
	ds_write2_b64 v58, v[6:7], v[18:19] offset1:1
	v_pk_add_f32 v[6:7], v[62:63], v[4:5]
	v_mov_b32_e32 v67, v65
	v_pk_add_f32 v[18:19], v[42:43], v[4:5]
	v_mov_b32_e32 v51, v49
	;; [unrolled: 2-line block ×8, first 2 shown]
	v_pk_add_f32 v[6:7], v[86:87], v[6:7]
	v_pk_add_f32 v[18:19], v[82:83], v[18:19]
	ds_write2_b64 v58, v[6:7], v[18:19] offset0:2 offset1:3
	v_pk_mul_f32 v[6:7], v[32:33], s[22:23] op_sel_hi:[1,0]
	v_pk_mul_f32 v[22:23], v[34:35], s[28:29] op_sel_hi:[1,0]
	v_pk_fma_f32 v[18:19], v[0:1], s[18:19], v[6:7] op_sel:[0,0,1] op_sel_hi:[1,0,0] neg_lo:[0,0,1] neg_hi:[0,0,1]
	v_pk_fma_f32 v[6:7], v[0:1], s[18:19], v[6:7] op_sel:[0,0,1] op_sel_hi:[1,0,0]
	v_mov_b32_e32 v20, v18
	v_mov_b32_e32 v21, v7
	v_pk_fma_f32 v[24:25], v[30:31], s[2:3], v[22:23] op_sel:[0,0,1] op_sel_hi:[1,0,0] neg_lo:[0,0,1] neg_hi:[0,0,1]
	v_pk_fma_f32 v[22:23], v[30:31], s[2:3], v[22:23] op_sel:[0,0,1] op_sel_hi:[1,0,0]
	v_mov_b32_e32 v12, v59
	v_pk_add_f32 v[20:21], v[20:21], v[4:5]
	v_mov_b32_e32 v26, v24
	v_mov_b32_e32 v27, v23
	v_pk_add_f32 v[20:21], v[26:27], v[20:21]
	v_pk_mul_f32 v[26:27], v[12:13], s[30:31] op_sel_hi:[1,0]
	v_mov_b32_e32 v14, v89
	v_pk_fma_f32 v[40:41], v[28:29], s[24:25], v[26:27] op_sel_hi:[1,0,1] neg_lo:[0,0,1] neg_hi:[0,0,1]
	v_pk_fma_f32 v[26:27], v[28:29], s[24:25], v[26:27] op_sel_hi:[1,0,1]
	v_mov_b32_e32 v15, v88
	v_mov_b32_e32 v42, v40
	;; [unrolled: 1-line block ×3, first 2 shown]
	v_pk_add_f32 v[20:21], v[42:43], v[20:21]
	v_pk_mul_f32 v[42:43], v[14:15], s[34:35] op_sel_hi:[1,0]
	v_mov_b32_e32 v16, v91
	v_pk_fma_f32 v[48:49], v[44:45], s[16:17], v[42:43] op_sel_hi:[1,0,1] neg_lo:[0,0,1] neg_hi:[0,0,1]
	v_pk_fma_f32 v[42:43], v[44:45], s[16:17], v[42:43] op_sel_hi:[1,0,1]
	v_mov_b32_e32 v17, v90
	v_mov_b32_e32 v50, v48
	v_mov_b32_e32 v51, v43
	v_pk_add_f32 v[20:21], v[50:51], v[20:21]
	v_pk_mul_f32 v[50:51], v[16:17], s[20:21] op_sel_hi:[1,0]
	v_pk_mul_f32 v[32:33], v[32:33], s[34:35] op_sel_hi:[1,0]
	v_pk_fma_f32 v[52:53], v[46:47], s[14:15], v[50:51] op_sel_hi:[1,0,1] neg_lo:[0,0,1] neg_hi:[0,0,1]
	v_pk_fma_f32 v[50:51], v[46:47], s[14:15], v[50:51] op_sel_hi:[1,0,1]
	v_mov_b32_e32 v54, v52
	v_mov_b32_e32 v55, v51
	v_pk_add_f32 v[20:21], v[54:55], v[20:21]
	v_pk_mul_f32 v[34:35], v[34:35], s[26:27] op_sel_hi:[1,0]
	v_pk_fma_f32 v[54:55], v[0:1], s[16:17], v[32:33] op_sel:[0,0,1] op_sel_hi:[1,0,0] neg_lo:[0,0,1] neg_hi:[0,0,1]
	v_pk_fma_f32 v[0:1], v[0:1], s[16:17], v[32:33] op_sel:[0,0,1] op_sel_hi:[1,0,0]
	v_mov_b32_e32 v32, v54
	v_mov_b32_e32 v33, v1
	v_pk_fma_f32 v[56:57], v[30:31], s[24:25], v[34:35] op_sel:[0,0,1] op_sel_hi:[1,0,0] neg_lo:[0,0,1] neg_hi:[0,0,1]
	v_pk_fma_f32 v[30:31], v[30:31], s[24:25], v[34:35] op_sel:[0,0,1] op_sel_hi:[1,0,0]
	v_pk_mul_f32 v[12:13], v[12:13], s[22:23] op_sel_hi:[1,0]
	v_pk_add_f32 v[32:33], v[32:33], v[4:5]
	v_mov_b32_e32 v34, v56
	v_mov_b32_e32 v35, v31
	v_pk_add_f32 v[32:33], v[34:35], v[32:33]
	v_pk_fma_f32 v[34:35], v[28:29], s[18:19], v[12:13] op_sel_hi:[1,0,1] neg_lo:[0,0,1] neg_hi:[0,0,1]
	v_pk_fma_f32 v[12:13], v[28:29], s[18:19], v[12:13] op_sel_hi:[1,0,1]
	v_pk_mul_f32 v[14:15], v[14:15], s[20:21] op_sel_hi:[1,0]
	v_mov_b32_e32 v28, v34
	v_mov_b32_e32 v29, v13
	;; [unrolled: 1-line block ×4, first 2 shown]
	v_pk_add_f32 v[28:29], v[28:29], v[32:33]
	v_pk_fma_f32 v[32:33], v[44:45], s[14:15], v[14:15] op_sel_hi:[1,0,1] neg_lo:[0,0,1] neg_hi:[0,0,1]
	v_pk_fma_f32 v[14:15], v[44:45], s[14:15], v[14:15] op_sel_hi:[1,0,1]
	v_pk_add_f32 v[0:1], v[0:1], v[4:5]
	v_mov_b32_e32 v31, v57
	v_pk_add_f32 v[4:5], v[6:7], v[4:5]
	v_mov_b32_e32 v23, v25
	v_pk_mul_f32 v[16:17], v[16:17], s[6:7] op_sel_hi:[1,0]
	v_mov_b32_e32 v44, v32
	v_mov_b32_e32 v45, v15
	v_pk_add_f32 v[0:1], v[30:31], v[0:1]
	v_mov_b32_e32 v13, v35
	v_pk_add_f32 v[4:5], v[22:23], v[4:5]
	;; [unrolled: 2-line block ×3, first 2 shown]
	v_pk_fma_f32 v[44:45], v[46:47], s[2:3], v[16:17] op_sel_hi:[1,0,1] neg_lo:[0,0,1] neg_hi:[0,0,1]
	v_pk_fma_f32 v[16:17], v[46:47], s[2:3], v[16:17] op_sel_hi:[1,0,1]
	v_pk_add_f32 v[0:1], v[12:13], v[0:1]
	v_mov_b32_e32 v15, v33
	v_pk_add_f32 v[4:5], v[26:27], v[4:5]
	v_mov_b32_e32 v43, v49
	v_mov_b32_e32 v46, v44
	;; [unrolled: 1-line block ×3, first 2 shown]
	v_pk_add_f32 v[0:1], v[14:15], v[0:1]
	v_mov_b32_e32 v17, v45
	v_pk_add_f32 v[4:5], v[42:43], v[4:5]
	v_mov_b32_e32 v51, v53
	v_pk_add_f32 v[28:29], v[46:47], v[28:29]
	v_pk_add_f32 v[0:1], v[16:17], v[0:1]
	;; [unrolled: 1-line block ×3, first 2 shown]
	ds_write2_b64 v58, v[20:21], v[28:29] offset0:4 offset1:5
	ds_write2_b64 v58, v[0:1], v[4:5] offset0:6 offset1:7
	;; [unrolled: 1-line block ×3, first 2 shown]
	ds_write_b64 v58, v[2:3] offset:80
.LBB0_7:
	s_or_b64 exec, exec, s[0:1]
	v_add_lshl_u32 v117, v112, v36, 3
	s_waitcnt lgkmcnt(0)
	s_barrier
	ds_read2_b64 v[16:19], v117 offset1:22
	ds_read2_b64 v[20:23], v117 offset0:99 offset1:121
	ds_read2_b64 v[4:7], v117 offset0:44 offset1:66
	;; [unrolled: 1-line block ×3, first 2 shown]
	v_cmp_gt_u16_e64 s[0:1], 11, v36
	s_and_saveexec_b64 s[2:3], s[0:1]
	s_cbranch_execz .LBB0_9
; %bb.8:
	ds_read2_b64 v[8:11], v117 offset0:88 offset1:187
.LBB0_9:
	s_or_b64 exec, exec, s[2:3]
	v_lshl_add_u64 v[0:1], v[36:37], 0, -11
	v_cndmask_b32_e64 v1, v1, 0, s[0:1]
	v_cndmask_b32_e64 v0, v0, v36, s[0:1]
	v_lshl_add_u64 v[24:25], v[0:1], 3, s[10:11]
	v_add_u16_e32 v1, 22, v36
	s_movk_i32 s2, 0x75
	v_add_u16_e32 v29, 44, v36
	v_add_u16_e32 v32, 0x42, v36
	v_mul_lo_u16_sdwa v26, v1, s2 dst_sel:DWORD dst_unused:UNUSED_PAD src0_sel:BYTE_0 src1_sel:DWORD
	v_mul_lo_u16_sdwa v30, v29, s2 dst_sel:DWORD dst_unused:UNUSED_PAD src0_sel:BYTE_0 src1_sel:DWORD
	;; [unrolled: 1-line block ×3, first 2 shown]
	v_sub_u16_sdwa v27, v1, v26 dst_sel:DWORD dst_unused:UNUSED_PAD src0_sel:DWORD src1_sel:BYTE_1
	v_sub_u16_sdwa v31, v29, v30 dst_sel:DWORD dst_unused:UNUSED_PAD src0_sel:DWORD src1_sel:BYTE_1
	v_sub_u16_sdwa v34, v32, v33 dst_sel:DWORD dst_unused:UNUSED_PAD src0_sel:DWORD src1_sel:BYTE_1
	v_lshrrev_b16_e32 v27, 1, v27
	v_lshrrev_b16_e32 v31, 1, v31
	;; [unrolled: 1-line block ×3, first 2 shown]
	v_and_b32_e32 v27, 0x7f, v27
	v_and_b32_e32 v31, 0x7f, v31
	;; [unrolled: 1-line block ×3, first 2 shown]
	v_add_u16_sdwa v26, v27, v26 dst_sel:DWORD dst_unused:UNUSED_PAD src0_sel:DWORD src1_sel:BYTE_1
	v_add_u16_sdwa v30, v31, v30 dst_sel:DWORD dst_unused:UNUSED_PAD src0_sel:DWORD src1_sel:BYTE_1
	v_add_u16_sdwa v33, v34, v33 dst_sel:DWORD dst_unused:UNUSED_PAD src0_sel:DWORD src1_sel:BYTE_1
	v_lshrrev_b16_e32 v26, 3, v26
	v_lshrrev_b16_e32 v30, 3, v30
	;; [unrolled: 1-line block ×3, first 2 shown]
	v_mul_lo_u16_e32 v27, 11, v26
	v_mul_lo_u16_e32 v31, 11, v30
	;; [unrolled: 1-line block ×3, first 2 shown]
	v_sub_u16_e32 v1, v1, v27
	v_mov_b32_e32 v27, 3
	v_sub_u16_e32 v29, v29, v31
	v_sub_u16_e32 v32, v32, v34
	v_lshlrev_b32_sdwa v28, v27, v1 dst_sel:DWORD dst_unused:UNUSED_PAD src0_sel:DWORD src1_sel:BYTE_0
	v_lshlrev_b32_sdwa v31, v27, v29 dst_sel:DWORD dst_unused:UNUSED_PAD src0_sel:DWORD src1_sel:BYTE_0
	;; [unrolled: 1-line block ×3, first 2 shown]
	global_load_dwordx2 v[48:49], v[24:25], off
	global_load_dwordx2 v[46:47], v28, s[10:11]
	global_load_dwordx2 v[44:45], v31, s[10:11]
	;; [unrolled: 1-line block ×3, first 2 shown]
	v_add_u16_e32 v24, 0x58, v36
	v_mul_lo_u16_sdwa v25, v24, s2 dst_sel:DWORD dst_unused:UNUSED_PAD src0_sel:BYTE_0 src1_sel:DWORD
	v_sub_u16_sdwa v27, v24, v25 dst_sel:DWORD dst_unused:UNUSED_PAD src0_sel:DWORD src1_sel:BYTE_1
	v_lshrrev_b16_e32 v27, 1, v27
	v_and_b32_e32 v27, 0x7f, v27
	v_add_u16_sdwa v25, v27, v25 dst_sel:DWORD dst_unused:UNUSED_PAD src0_sel:DWORD src1_sel:BYTE_1
	v_lshrrev_b16_e32 v25, 3, v25
	v_mul_lo_u16_e32 v25, 11, v25
	v_sub_u16_e32 v118, v24, v25
	v_and_b32_e32 v24, 0xff, v118
	v_lshlrev_b32_e32 v25, 3, v24
	global_load_dwordx2 v[40:41], v25, s[10:11]
	v_cmp_lt_u16_e64 s[2:3], 10, v36
	v_mad_legacy_u16 v1, v26, 22, v1
	v_and_b32_e32 v1, 0xff, v1
	v_cndmask_b32_e64 v25, 0, 22, s[2:3]
	v_add_u32_e32 v0, v0, v25
	v_add_lshl_u32 v119, v112, v0, 3
	v_mul_u32_u24_e32 v0, 22, v30
	v_add_u32_sdwa v0, v0, v29 dst_sel:DWORD dst_unused:UNUSED_PAD src0_sel:DWORD src1_sel:BYTE_0
	v_add_lshl_u32 v122, v112, v0, 3
	v_add_lshl_u32 v123, v112, v1, 3
	s_load_dwordx4 s[4:7], s[4:5], 0x0
	s_waitcnt lgkmcnt(0)
	s_barrier
	v_mul_u32_u24_e32 v25, 22, v33
	v_add_u32_sdwa v25, v25, v32 dst_sel:DWORD dst_unused:UNUSED_PAD src0_sel:DWORD src1_sel:BYTE_0
	v_add_lshl_u32 v120, v112, v25, 3
	s_waitcnt vmcnt(4)
	v_pk_mul_f32 v[0:1], v[20:21], v[48:49] op_sel:[0,1]
	s_nop 0
	v_pk_fma_f32 v[26:27], v[20:21], v[48:49], v[0:1] op_sel:[0,0,1] op_sel_hi:[1,1,0] neg_lo:[0,0,1] neg_hi:[0,0,1]
	v_pk_fma_f32 v[0:1], v[20:21], v[48:49], v[0:1] op_sel:[0,0,1] op_sel_hi:[1,0,0]
	s_waitcnt vmcnt(1)
	v_pk_mul_f32 v[20:21], v[14:15], v[42:43] op_sel:[0,1]
	v_mov_b32_e32 v27, v1
	v_pk_add_f32 v[0:1], v[16:17], v[26:27] neg_lo:[0,1] neg_hi:[0,1]
	s_waitcnt vmcnt(0)
	v_pk_mul_f32 v[26:27], v[10:11], v[40:41] op_sel:[1,0]
	v_pk_fma_f32 v[16:17], v[16:17], 2.0, v[0:1] op_sel_hi:[1,0,1] neg_lo:[0,0,1] neg_hi:[0,0,1]
	ds_write2_b64 v119, v[16:17], v[0:1] offset1:11
	v_pk_mul_f32 v[0:1], v[22:23], v[46:47] op_sel:[0,1]
	v_pk_mul_f32 v[16:17], v[12:13], v[44:45] op_sel:[0,1]
	v_pk_fma_f32 v[28:29], v[22:23], v[46:47], v[0:1] op_sel:[0,0,1] op_sel_hi:[1,1,0] neg_lo:[0,0,1] neg_hi:[0,0,1]
	v_pk_fma_f32 v[0:1], v[22:23], v[46:47], v[0:1] op_sel:[0,0,1] op_sel_hi:[1,0,0]
	v_pk_fma_f32 v[22:23], v[12:13], v[44:45], v[16:17] op_sel:[0,0,1] op_sel_hi:[1,1,0] neg_lo:[0,0,1] neg_hi:[0,0,1]
	v_pk_fma_f32 v[12:13], v[12:13], v[44:45], v[16:17] op_sel:[0,0,1] op_sel_hi:[1,0,0]
	;; [unrolled: 2-line block ×3, first 2 shown]
	v_mov_b32_e32 v29, v1
	v_mov_b32_e32 v23, v13
	;; [unrolled: 1-line block ×3, first 2 shown]
	v_pk_add_f32 v[10:11], v[18:19], v[28:29] neg_lo:[0,1] neg_hi:[0,1]
	v_pk_add_f32 v[12:13], v[4:5], v[22:23] neg_lo:[0,1] neg_hi:[0,1]
	;; [unrolled: 1-line block ×3, first 2 shown]
	v_pk_fma_f32 v[16:17], v[18:19], 2.0, v[10:11] op_sel_hi:[1,0,1] neg_lo:[0,0,1] neg_hi:[0,0,1]
	v_pk_fma_f32 v[4:5], v[4:5], 2.0, v[12:13] op_sel_hi:[1,0,1] neg_lo:[0,0,1] neg_hi:[0,0,1]
	ds_write2_b64 v123, v[16:17], v[10:11] offset1:11
	ds_write2_b64 v122, v[4:5], v[12:13] offset1:11
	v_pk_fma_f32 v[4:5], v[14:15], v[42:43], v[20:21] op_sel:[0,0,1] op_sel_hi:[1,1,0] neg_lo:[0,0,1] neg_hi:[0,0,1]
	v_pk_fma_f32 v[10:11], v[14:15], v[42:43], v[20:21] op_sel:[0,0,1] op_sel_hi:[1,0,0]
	s_nop 0
	v_mov_b32_e32 v5, v11
	v_pk_add_f32 v[4:5], v[6:7], v[4:5] neg_lo:[0,1] neg_hi:[0,1]
	s_nop 0
	v_pk_fma_f32 v[6:7], v[6:7], 2.0, v[4:5] op_sel_hi:[1,0,1] neg_lo:[0,0,1] neg_hi:[0,0,1]
	ds_write2_b64 v120, v[6:7], v[4:5] offset1:11
	s_and_saveexec_b64 s[2:3], s[0:1]
	s_cbranch_execz .LBB0_11
; %bb.10:
	v_add_lshl_u32 v6, v112, v24, 3
	v_pk_fma_f32 v[4:5], v[8:9], 2.0, v[0:1] op_sel_hi:[1,0,1] neg_lo:[0,0,1] neg_hi:[0,0,1]
	ds_write2_b64 v6, v[4:5], v[0:1] offset0:176 offset1:187
.LBB0_11:
	s_or_b64 exec, exec, s[2:3]
	v_lshlrev_b32_e32 v20, 6, v36
	s_waitcnt lgkmcnt(0)
	s_barrier
	global_load_dwordx4 v[16:19], v20, s[10:11] offset:88
	global_load_dwordx4 v[12:15], v20, s[10:11] offset:104
	;; [unrolled: 1-line block ×4, first 2 shown]
	ds_read2_b64 v[24:27], v117 offset1:22
	ds_read2_b64 v[20:23], v117 offset0:44 offset1:66
	ds_read2_b64 v[28:31], v117 offset0:88 offset1:110
	;; [unrolled: 1-line block ×3, first 2 shown]
	ds_read_b64 v[50:51], v117 offset:1408
	s_mov_b32 s16, 0x3f248dbb
	s_mov_b32 s17, 0x3f7c1c5c
	;; [unrolled: 1-line block ×10, first 2 shown]
	s_waitcnt vmcnt(3) lgkmcnt(4)
	v_pk_mul_f32 v[52:53], v[26:27], v[16:17] op_sel:[0,1]
	v_mov_b32_e32 v54, v19
	s_waitcnt vmcnt(2) lgkmcnt(3)
	v_pk_mul_f32 v[56:57], v[22:23], v[12:13] op_sel:[0,1]
	v_mov_b32_e32 v58, v15
	;; [unrolled: 3-line block ×4, first 2 shown]
	v_pk_fma_f32 v[68:69], v[26:27], v[16:17], v[52:53] op_sel:[0,0,1] op_sel_hi:[1,1,0] neg_lo:[0,0,1] neg_hi:[0,0,1]
	v_pk_fma_f32 v[26:27], v[26:27], v[16:17], v[52:53] op_sel:[0,0,1] op_sel_hi:[1,0,0]
	v_pk_mul_f32 v[52:53], v[20:21], v[54:55] op_sel_hi:[1,0]
	v_pk_fma_f32 v[54:55], v[22:23], v[12:13], v[56:57] op_sel:[0,0,1] op_sel_hi:[1,1,0] neg_lo:[0,0,1] neg_hi:[0,0,1]
	v_pk_fma_f32 v[22:23], v[22:23], v[12:13], v[56:57] op_sel:[0,0,1] op_sel_hi:[1,0,0]
	v_pk_mul_f32 v[56:57], v[28:29], v[58:59] op_sel_hi:[1,0]
	;; [unrolled: 3-line block ×3, first 2 shown]
	v_pk_fma_f32 v[62:63], v[34:35], v[4:5], v[64:65] op_sel:[0,0,1] op_sel_hi:[1,1,0] neg_lo:[0,0,1] neg_hi:[0,0,1]
	v_pk_fma_f32 v[34:35], v[34:35], v[4:5], v[64:65] op_sel:[0,0,1] op_sel_hi:[1,0,0]
	s_waitcnt lgkmcnt(0)
	v_pk_mul_f32 v[64:65], v[50:51], v[66:67] op_sel_hi:[1,0]
	v_pk_fma_f32 v[66:67], v[20:21], v[18:19], v[52:53] op_sel:[0,0,1] op_sel_hi:[1,1,0] neg_lo:[0,0,1] neg_hi:[0,0,1]
	v_pk_fma_f32 v[20:21], v[20:21], v[18:19], v[52:53] op_sel:[0,0,1] op_sel_hi:[1,0,0]
	v_mov_b32_e32 v55, v23
	v_pk_fma_f32 v[52:53], v[28:29], v[14:15], v[56:57] op_sel:[0,0,1] op_sel_hi:[1,1,0] neg_lo:[0,0,1] neg_hi:[0,0,1]
	v_pk_fma_f32 v[22:23], v[28:29], v[14:15], v[56:57] op_sel:[0,0,1] op_sel_hi:[1,0,0]
	v_mov_b32_e32 v59, v31
	v_pk_fma_f32 v[28:29], v[32:33], v[10:11], v[60:61] op_sel:[0,0,1] op_sel_hi:[1,1,0] neg_lo:[0,0,1] neg_hi:[0,0,1]
	v_pk_fma_f32 v[30:31], v[32:33], v[10:11], v[60:61] op_sel:[0,0,1] op_sel_hi:[1,0,0]
	v_pk_fma_f32 v[32:33], v[50:51], v[6:7], v[64:65] op_sel:[0,0,1] op_sel_hi:[1,1,0] neg_lo:[0,0,1] neg_hi:[0,0,1]
	v_pk_fma_f32 v[50:51], v[50:51], v[6:7], v[64:65] op_sel:[0,0,1] op_sel_hi:[1,0,0]
	v_mov_b32_e32 v69, v27
	v_mov_b32_e32 v22, v27
	v_mov_b32_e32 v27, v62
	v_mov_b32_e32 v57, v68
	v_mov_b32_e32 v20, v35
	v_mov_b32_e32 v67, v21
	v_mov_b32_e32 v53, v23
	v_mov_b32_e32 v29, v31
	v_mov_b32_e32 v23, v66
	v_mov_b32_e32 v26, v51
	v_mov_b32_e32 v56, v21
	v_mov_b32_e32 v21, v32
	v_mov_b32_e32 v33, v51
	v_pk_add_f32 v[60:61], v[54:55], v[28:29]
	v_pk_add_f32 v[22:23], v[22:23], v[26:27] neg_lo:[0,1] neg_hi:[0,1]
	v_pk_add_f32 v[26:27], v[56:57], v[20:21] neg_lo:[0,1] neg_hi:[0,1]
	;; [unrolled: 1-line block ×4, first 2 shown]
	v_mov_b32_e32 v63, v35
	v_pk_add_f32 v[30:31], v[68:69], v[32:33]
	v_pk_mul_f32 v[54:55], v[20:21], s[2:3] op_sel_hi:[1,0]
	v_pk_mul_f32 v[20:21], v[26:27], s[24:25]
	v_mul_f32_e32 v37, 0x3f7c1c5c, v28
	v_pk_add_f32 v[32:33], v[66:67], v[62:63]
	v_mov_b32_e32 v56, v22
	v_mov_b32_e32 v57, v27
	;; [unrolled: 1-line block ×3, first 2 shown]
	v_pk_fma_f32 v[20:21], v[22:23], s[16:17], v[20:21]
	v_fma_f32 v71, v23, s22, -v37
	v_pk_fma_f32 v[22:23], v[30:31], s[18:19], v[24:25] op_sel_hi:[1,0,1]
	v_pk_add_f32 v[34:35], v[52:53], v[58:59]
	v_pk_fma_f32 v[22:23], v[32:33], s[20:21], v[22:23] op_sel_hi:[1,0,1]
	v_pk_add_f32 v[20:21], v[54:55], v[20:21] op_sel:[1,0] op_sel_hi:[0,1]
	v_pk_fma_f32 v[22:23], v[60:61], 0.5, v[22:23] op_sel_hi:[1,0,1] neg_lo:[1,0,0] neg_hi:[1,0,0]
	v_pk_fma_f32 v[20:21], v[28:29], s[14:15], v[20:21] op_sel:[1,0,0] op_sel_hi:[0,0,1]
	v_pk_fma_f32 v[22:23], v[34:35], s[10:11], v[22:23] op_sel_hi:[1,0,1] neg_lo:[1,0,0] neg_hi:[1,0,0]
	s_mov_b32 s16, s17
	v_pk_add_f32 v[72:73], v[22:23], v[20:21]
	v_pk_add_f32 v[74:75], v[22:23], v[20:21] neg_lo:[0,1] neg_hi:[0,1]
	v_pk_mul_f32 v[22:23], v[28:29], s[22:23] op_sel:[1,0] op_sel_hi:[0,0]
	v_pk_fma_f32 v[22:23], v[56:57], s[16:17], v[22:23] op_sel_hi:[1,0,1]
	v_mul_f32_e32 v67, 0x3f7c1c5c, v29
	v_pk_add_f32 v[62:63], v[28:29], v[56:57] op_sel:[1,0] op_sel_hi:[0,1]
	v_pk_add_f32 v[22:23], v[22:23], v[54:55] op_sel:[0,1] op_sel_hi:[1,0] neg_lo:[0,1] neg_hi:[0,1]
	v_pk_add_f32 v[62:63], v[62:63], v[26:27] neg_lo:[0,1] neg_hi:[0,1]
	v_fma_f32 v70, v26, s22, -v67
	v_pk_fma_f32 v[22:23], v[26:27], s[14:15], v[22:23] op_sel_hi:[1,0,1]
	v_pk_fma_f32 v[26:27], v[34:35], s[18:19], v[24:25] op_sel_hi:[1,0,1]
	v_pk_add_f32 v[50:51], v[32:33], v[30:31]
	v_pk_fma_f32 v[26:27], v[30:31], s[20:21], v[26:27] op_sel_hi:[1,0,1]
	v_pk_add_f32 v[64:65], v[34:35], v[50:51]
	v_pk_fma_f32 v[26:27], v[60:61], 0.5, v[26:27] op_sel_hi:[1,0,1] neg_lo:[1,0,0] neg_hi:[1,0,0]
	v_pk_add_f32 v[50:51], v[60:61], v[50:51]
	v_pk_fma_f32 v[26:27], v[32:33], s[10:11], v[26:27] op_sel_hi:[1,0,1] neg_lo:[1,0,0] neg_hi:[1,0,0]
	v_pk_add_f32 v[82:83], v[60:61], v[24:25]
	v_pk_add_f32 v[78:79], v[26:27], v[22:23]
	v_pk_add_f32 v[80:81], v[26:27], v[22:23] neg_lo:[0,1] neg_hi:[0,1]
	v_pk_add_f32 v[26:27], v[52:53], v[50:51]
	v_fmamk_f32 v32, v32, 0x3f441b7d, v24
	v_pk_add_f32 v[26:27], v[58:59], v[26:27]
	v_fmamk_f32 v33, v33, 0x3f441b7d, v25
	v_pk_add_f32 v[50:51], v[26:27], v[24:25]
	v_pk_mul_f32 v[24:25], v[62:63], s[2:3] op_sel_hi:[1,0]
	v_add_f32_e32 v66, v20, v20
	v_add_f32_e32 v69, v21, v21
	v_fmac_f32_e32 v32, 0x3e31d0d4, v34
	v_add_f32_e32 v34, v24, v24
	v_add_f32_e32 v53, v25, v25
	v_pk_add_f32 v[24:25], v[54:55], v[70:71] op_sel:[1,0] op_sel_hi:[0,1]
	v_mov_b32_e32 v68, v72
	v_mov_b32_e32 v67, v75
	v_add_f32_e32 v28, v22, v22
	v_add_f32_e32 v77, v23, v23
	v_pk_fma_f32 v[54:55], v[56:57], s[14:15], v[24:25] op_sel_hi:[1,0,1]
	v_pk_add_f32 v[26:27], v[72:73], v[66:67] neg_lo:[0,1] neg_hi:[0,1]
	v_pk_add_f32 v[24:25], v[68:69], v[74:75]
	v_mov_b32_e32 v76, v78
	v_mov_b32_e32 v29, v81
	;; [unrolled: 1-line block ×3, first 2 shown]
	v_pk_add_f32 v[24:25], v[78:79], v[28:29] neg_lo:[0,1] neg_hi:[0,1]
	v_pk_add_f32 v[28:29], v[76:77], v[80:81]
	v_fmac_f32_e32 v33, 0x3e31d0d4, v35
	v_mov_b32_e32 v25, v29
	v_pk_fma_f32 v[28:29], v[64:65], 0.5, v[82:83] op_sel_hi:[1,0,1] neg_lo:[1,0,0] neg_hi:[1,0,0]
	v_pk_fma_f32 v[32:33], v[60:61], 0.5, v[32:33] op_sel_hi:[1,0,1] neg_lo:[1,0,0] neg_hi:[1,0,0]
	v_pk_fma_f32 v[56:57], v[62:63], s[2:3], v[28:29] op_sel_hi:[1,0,1]
	v_pk_fma_f32 v[58:59], v[62:63], s[2:3], v[28:29] op_sel_hi:[1,0,1] neg_lo:[1,0,0] neg_hi:[1,0,0]
	v_mov_b32_e32 v52, v56
	v_mov_b32_e32 v35, v59
	v_pk_add_f32 v[34:35], v[56:57], v[34:35] neg_lo:[0,1] neg_hi:[0,1]
	v_pk_add_f32 v[52:53], v[52:53], v[58:59]
	v_pk_fma_f32 v[30:31], v[30:31], s[10:11], v[32:33] op_sel_hi:[1,0,1] neg_lo:[1,0,0] neg_hi:[1,0,0]
	v_mov_b32_e32 v35, v53
	v_pk_add_f32 v[32:33], v[30:31], v[54:55]
	v_pk_add_f32 v[52:53], v[30:31], v[54:55] neg_lo:[0,1] neg_hi:[0,1]
	v_mov_b32_e32 v28, v56
	v_add_f32_e32 v54, v54, v54
	v_add_f32_e32 v57, v55, v55
	v_mov_b32_e32 v56, v32
	v_mov_b32_e32 v55, v53
	;; [unrolled: 1-line block ×4, first 2 shown]
	v_pk_add_f32 v[32:33], v[32:33], v[54:55] neg_lo:[0,1] neg_hi:[0,1]
	v_pk_add_f32 v[52:53], v[56:57], v[52:53]
	v_mov_b32_e32 v20, v72
	v_mov_b32_e32 v21, v75
	;; [unrolled: 1-line block ×6, first 2 shown]
	v_lshl_add_u32 v37, v36, 3, v116
	ds_write_b64 v37, v[50:51]
	ds_write2_b64 v37, v[20:21], v[22:23] offset0:22 offset1:44
	ds_write2_b64 v37, v[28:29], v[30:31] offset0:66 offset1:88
	;; [unrolled: 1-line block ×4, first 2 shown]
	s_waitcnt lgkmcnt(0)
	s_barrier
	s_and_saveexec_b64 s[2:3], vcc
	s_cbranch_execz .LBB0_13
; %bb.12:
	global_load_dwordx2 v[52:53], v39, s[8:9] offset:1584
	s_add_u32 s10, s8, 0x630
	s_addc_u32 s11, s9, 0
	global_load_dwordx2 v[72:73], v39, s[10:11] offset:144
	global_load_dwordx2 v[74:75], v39, s[10:11] offset:288
	global_load_dwordx2 v[76:77], v39, s[10:11] offset:432
	global_load_dwordx2 v[78:79], v39, s[10:11] offset:576
	global_load_dwordx2 v[80:81], v39, s[10:11] offset:720
	global_load_dwordx2 v[82:83], v39, s[10:11] offset:864
	global_load_dwordx2 v[84:85], v39, s[10:11] offset:1008
	global_load_dwordx2 v[86:87], v39, s[10:11] offset:1152
	global_load_dwordx2 v[88:89], v39, s[10:11] offset:1296
	global_load_dwordx2 v[90:91], v39, s[10:11] offset:1440
	ds_read_b64 v[54:55], v37
	s_waitcnt vmcnt(10) lgkmcnt(0)
	v_mul_f32_e32 v56, v55, v53
	v_mul_f32_e32 v57, v54, v53
	v_fma_f32 v56, v54, v52, -v56
	v_fmac_f32_e32 v57, v55, v52
	ds_write_b64 v37, v[56:57]
	ds_read2_b64 v[52:55], v37 offset0:18 offset1:36
	ds_read2_b64 v[56:59], v37 offset0:54 offset1:72
	;; [unrolled: 1-line block ×5, first 2 shown]
	s_waitcnt vmcnt(9) lgkmcnt(4)
	v_mul_f32_e32 v92, v53, v73
	v_mul_f32_e32 v93, v52, v73
	s_waitcnt vmcnt(8)
	v_mul_f32_e32 v94, v55, v75
	v_mul_f32_e32 v73, v54, v75
	s_waitcnt vmcnt(7) lgkmcnt(3)
	v_mul_f32_e32 v95, v57, v77
	v_mul_f32_e32 v75, v56, v77
	s_waitcnt vmcnt(6)
	v_mul_f32_e32 v96, v59, v79
	v_mul_f32_e32 v77, v58, v79
	s_waitcnt vmcnt(5) lgkmcnt(2)
	v_mul_f32_e32 v97, v61, v81
	v_mul_f32_e32 v79, v60, v81
	s_waitcnt vmcnt(4)
	v_mul_f32_e32 v98, v63, v83
	v_mul_f32_e32 v81, v62, v83
	s_waitcnt vmcnt(3) lgkmcnt(1)
	v_mul_f32_e32 v99, v65, v85
	v_mul_f32_e32 v83, v64, v85
	s_waitcnt vmcnt(2)
	v_mul_f32_e32 v100, v67, v87
	v_mul_f32_e32 v85, v66, v87
	s_waitcnt vmcnt(1) lgkmcnt(0)
	v_mul_f32_e32 v101, v69, v89
	v_mul_f32_e32 v87, v68, v89
	s_waitcnt vmcnt(0)
	v_mul_f32_e32 v102, v71, v91
	v_mul_f32_e32 v89, v70, v91
	v_fma_f32 v92, v52, v72, -v92
	v_fmac_f32_e32 v93, v53, v72
	v_fma_f32 v72, v54, v74, -v94
	v_fmac_f32_e32 v73, v55, v74
	;; [unrolled: 2-line block ×10, first 2 shown]
	ds_write2_b64 v37, v[92:93], v[72:73] offset0:18 offset1:36
	ds_write2_b64 v37, v[74:75], v[76:77] offset0:54 offset1:72
	;; [unrolled: 1-line block ×5, first 2 shown]
.LBB0_13:
	s_or_b64 exec, exec, s[2:3]
	s_waitcnt lgkmcnt(0)
	s_barrier
	s_and_saveexec_b64 s[2:3], vcc
	s_cbranch_execz .LBB0_15
; %bb.14:
	ds_read_b64 v[50:51], v37
	ds_read2_b64 v[20:23], v37 offset0:18 offset1:36
	ds_read2_b64 v[28:31], v37 offset0:54 offset1:72
	;; [unrolled: 1-line block ×5, first 2 shown]
.LBB0_15:
	s_or_b64 exec, exec, s[2:3]
	s_waitcnt lgkmcnt(0)
	v_pk_add_f32 v[52:53], v[20:21], v[2:3] neg_lo:[0,1] neg_hi:[0,1]
	v_pk_add_f32 v[66:67], v[20:21], v[2:3]
	v_mov_b32_e32 v57, v52
	v_mov_b32_e32 v56, v66
	;; [unrolled: 1-line block ×3, first 2 shown]
	v_pk_add_f32 v[52:53], v[22:23], v[0:1] neg_lo:[0,1] neg_hi:[0,1]
	v_pk_add_f32 v[68:69], v[22:23], v[0:1]
	v_mov_b32_e32 v59, v52
	v_mov_b32_e32 v58, v68
	;; [unrolled: 1-line block ×3, first 2 shown]
	v_pk_add_f32 v[52:53], v[28:29], v[26:27] neg_lo:[0,1] neg_hi:[0,1]
	v_pk_add_f32 v[70:71], v[28:29], v[26:27]
	s_mov_b32 s42, 0xbf68dda4
	v_mov_b32_e32 v60, v70
	v_mov_b32_e32 v61, v52
	;; [unrolled: 1-line block ×3, first 2 shown]
	v_pk_add_f32 v[52:53], v[30:31], v[24:25] neg_lo:[0,1] neg_hi:[0,1]
	v_pk_add_f32 v[72:73], v[30:31], v[24:25]
	s_mov_b32 s43, 0x3ed4b147
	s_mov_b32 s26, 0xbf4178ce
	v_mov_b32_e32 v62, v72
	v_mov_b32_e32 v63, v52
	;; [unrolled: 1-line block ×3, first 2 shown]
	v_pk_add_f32 v[52:53], v[32:33], v[34:35] neg_lo:[0,1] neg_hi:[0,1]
	v_pk_add_f32 v[74:75], v[32:33], v[34:35]
	v_pk_mul_f32 v[76:77], v[66:67], s[42:43]
	s_mov_b32 s2, s43
	s_mov_b32 s3, s42
	;; [unrolled: 1-line block ×3, first 2 shown]
	v_mov_b32_e32 v64, v74
	v_mov_b32_e32 v65, v52
	;; [unrolled: 1-line block ×3, first 2 shown]
	v_pk_fma_f32 v[52:53], v[56:57], s[2:3], v[76:77] neg_lo:[0,0,1] neg_hi:[0,0,1]
	v_pk_fma_f32 v[78:79], v[56:57], s[2:3], v[76:77]
	v_pk_mul_f32 v[80:81], v[68:69], s[26:27]
	s_mov_b32 s10, s27
	s_mov_b32 s11, s26
	;; [unrolled: 1-line block ×3, first 2 shown]
	v_mov_b32_e32 v53, v79
	v_pk_fma_f32 v[54:55], v[58:59], s[10:11], v[80:81] neg_lo:[0,0,1] neg_hi:[0,0,1]
	v_pk_fma_f32 v[82:83], v[58:59], s[10:11], v[80:81]
	s_mov_b32 s20, 0x3e903f40
	s_mov_b32 s21, s14
	v_pk_add_f32 v[52:53], v[50:51], v[52:53]
	v_mov_b32_e32 v55, v83
	v_pk_mul_f32 v[84:85], v[70:71], s[20:21]
	s_mov_b32 s15, s20
	s_mov_b32 s36, 0x3f7d64f0
	v_pk_add_f32 v[52:53], v[54:55], v[52:53]
	v_pk_fma_f32 v[54:55], v[60:61], s[14:15], v[84:85] neg_lo:[0,0,1] neg_hi:[0,0,1]
	v_pk_fma_f32 v[86:87], v[60:61], s[14:15], v[84:85]
	s_mov_b32 s37, 0xbe11bafb
	v_mov_b32_e32 v55, v87
	v_pk_mul_f32 v[88:89], v[72:73], s[36:37]
	s_mov_b32 s18, s37
	s_mov_b32 s19, s36
	;; [unrolled: 1-line block ×3, first 2 shown]
	v_pk_add_f32 v[52:53], v[54:55], v[52:53]
	v_pk_fma_f32 v[54:55], v[62:63], s[18:19], v[88:89] neg_lo:[0,0,1] neg_hi:[0,0,1]
	v_pk_fma_f32 v[90:91], v[62:63], s[18:19], v[88:89]
	s_mov_b32 s31, 0x3f575c64
	v_mov_b32_e32 v55, v91
	v_pk_mul_f32 v[92:93], v[74:75], s[30:31]
	s_mov_b32 s28, s31
	s_mov_b32 s29, s30
	v_pk_add_f32 v[52:53], v[54:55], v[52:53]
	v_pk_fma_f32 v[54:55], v[64:65], s[28:29], v[92:93] neg_lo:[0,0,1] neg_hi:[0,0,1]
	v_pk_fma_f32 v[94:95], v[64:65], s[28:29], v[92:93]
	s_mov_b32 s34, 0xbf7d64f0
	s_mov_b32 s35, s37
	v_mov_b32_e32 v55, v95
	v_pk_mul_f32 v[96:97], v[66:67], s[34:35]
	s_mov_b32 s16, s37
	s_mov_b32 s17, s34
	v_pk_add_f32 v[52:53], v[54:55], v[52:53]
	v_pk_fma_f32 v[54:55], v[56:57], s[16:17], v[96:97] neg_lo:[0,0,1] neg_hi:[0,0,1]
	v_pk_fma_f32 v[98:99], v[56:57], s[16:17], v[96:97]
	v_pk_mul_f32 v[102:103], v[68:69], s[20:21]
	v_mov_b32_e32 v55, v99
	v_pk_fma_f32 v[104:105], v[58:59], s[14:15], v[102:103] neg_lo:[0,0,1] neg_hi:[0,0,1]
	v_pk_fma_f32 v[100:101], v[58:59], s[14:15], v[102:103]
	v_pk_add_f32 v[54:55], v[50:51], v[54:55]
	v_mov_b32_e32 v105, v101
	s_mov_b32 s38, 0x3f68dda4
	s_mov_b32 s39, s43
	v_pk_add_f32 v[54:55], v[104:105], v[54:55]
	v_pk_mul_f32 v[104:105], v[70:71], s[38:39]
	s_mov_b32 s24, s43
	s_mov_b32 s25, s38
	v_pk_fma_f32 v[108:109], v[60:61], s[24:25], v[104:105] neg_lo:[0,0,1] neg_hi:[0,0,1]
	v_pk_fma_f32 v[106:107], v[60:61], s[24:25], v[104:105]
	s_mov_b32 s40, 0xbf0a6770
	v_mov_b32_e32 v109, v107
	s_mov_b32 s41, s31
	v_pk_add_f32 v[54:55], v[108:109], v[54:55]
	v_pk_mul_f32 v[108:109], v[72:73], s[40:41]
	s_mov_b32 s22, s31
	s_mov_b32 s23, s40
	v_pk_fma_f32 v[112:113], v[62:63], s[22:23], v[108:109] neg_lo:[0,0,1] neg_hi:[0,0,1]
	v_pk_fma_f32 v[110:111], v[62:63], s[22:23], v[108:109]
	v_pk_mul_f32 v[114:115], v[74:75], s[26:27]
	v_mov_b32_e32 v113, v111
	v_pk_add_f32 v[54:55], v[112:113], v[54:55]
	v_pk_fma_f32 v[124:125], v[64:65], s[10:11], v[114:115] neg_lo:[0,0,1] neg_hi:[0,0,1]
	v_pk_fma_f32 v[112:113], v[64:65], s[10:11], v[114:115]
	s_nop 0
	v_mov_b32_e32 v125, v113
	v_pk_add_f32 v[54:55], v[124:125], v[54:55]
	s_barrier
	s_and_saveexec_b64 s[20:21], vcc
	s_cbranch_execz .LBB0_17
; %bb.16:
	v_pk_add_f32 v[20:21], v[20:21], v[50:51]
	v_pk_mul_f32 v[128:129], v[60:61], s[14:15]
	v_pk_add_f32 v[20:21], v[22:23], v[20:21]
	v_pk_mul_f32 v[136:137], v[58:59], s[14:15]
	v_pk_add_f32 v[20:21], v[28:29], v[20:21]
	s_mov_b32 s15, 0xbe903f40
	v_pk_add_f32 v[20:21], v[30:31], v[20:21]
	v_pk_mul_f32 v[126:127], v[58:59], s[10:11]
	v_pk_add_f32 v[20:21], v[32:33], v[20:21]
	v_lshl_add_u32 v121, v121, 3, v116
	v_pk_add_f32 v[20:21], v[34:35], v[20:21]
	v_pk_mul_f32 v[130:131], v[62:63], s[18:19]
	v_pk_add_f32 v[20:21], v[24:25], v[20:21]
	v_pk_mul_f32 v[24:25], v[68:69], s[42:43]
	v_pk_add_f32 v[20:21], v[26:27], v[20:21]
	v_pk_fma_f32 v[26:27], v[58:59], s[2:3], v[24:25]
	v_pk_add_f32 v[0:1], v[0:1], v[20:21]
	v_pk_fma_f32 v[28:29], v[58:59], s[2:3], v[24:25] neg_lo:[1,0,0] neg_hi:[1,0,0]
	v_pk_add_f32 v[0:1], v[2:3], v[0:1]
	v_pk_mul_f32 v[2:3], v[66:67], s[40:41]
	v_mov_b32_e32 v28, v26
	v_pk_fma_f32 v[20:21], v[56:57], s[22:23], v[2:3]
	v_pk_fma_f32 v[22:23], v[56:57], s[22:23], v[2:3] neg_lo:[1,0,0] neg_hi:[1,0,0]
	s_mov_b32 s42, s15
	v_mov_b32_e32 v22, v20
	v_pk_add_f32 v[22:23], v[50:51], v[22:23]
	s_mov_b32 s43, s14
	v_pk_add_f32 v[22:23], v[28:29], v[22:23]
	v_pk_mul_f32 v[28:29], v[70:71], s[34:35]
	v_pk_mul_f32 v[132:133], v[64:65], s[28:29]
	v_pk_fma_f32 v[30:31], v[60:61], s[16:17], v[28:29]
	v_pk_fma_f32 v[32:33], v[60:61], s[16:17], v[28:29] neg_lo:[1,0,0] neg_hi:[1,0,0]
	v_pk_mul_f32 v[124:125], v[56:57], s[2:3]
	v_mov_b32_e32 v32, v30
	v_pk_add_f32 v[22:23], v[32:33], v[22:23]
	v_pk_mul_f32 v[32:33], v[72:73], s[26:27]
	v_pk_mul_f32 v[134:135], v[56:57], s[16:17]
	v_pk_fma_f32 v[34:35], v[62:63], s[10:11], v[32:33]
	v_pk_fma_f32 v[144:145], v[62:63], s[10:11], v[32:33] neg_lo:[1,0,0] neg_hi:[1,0,0]
	v_pk_mul_f32 v[138:139], v[60:61], s[24:25]
	v_mov_b32_e32 v144, v34
	;; [unrolled: 7-line block ×3, first 2 shown]
	v_pk_add_f32 v[22:23], v[148:149], v[22:23]
	ds_write2_b64 v121, v[0:1], v[22:23] offset1:1
	v_pk_add_f32 v[22:23], v[80:81], v[126:127] neg_lo:[0,1] neg_hi:[0,1]
	v_pk_add_f32 v[0:1], v[76:77], v[124:125] neg_lo:[0,1] neg_hi:[0,1]
	v_mov_b32_e32 v83, v23
	v_pk_add_f32 v[22:23], v[84:85], v[128:129] neg_lo:[0,1] neg_hi:[0,1]
	v_mov_b32_e32 v79, v1
	v_mov_b32_e32 v87, v23
	v_pk_add_f32 v[22:23], v[88:89], v[130:131] neg_lo:[0,1] neg_hi:[0,1]
	v_pk_add_f32 v[76:77], v[102:103], v[136:137] neg_lo:[0,1] neg_hi:[0,1]
	v_mov_b32_e32 v91, v23
	v_pk_add_f32 v[22:23], v[92:93], v[132:133] neg_lo:[0,1] neg_hi:[0,1]
	v_pk_add_f32 v[0:1], v[50:51], v[78:79]
	v_mov_b32_e32 v95, v23
	v_pk_add_f32 v[22:23], v[96:97], v[134:135] neg_lo:[0,1] neg_hi:[0,1]
	v_mov_b32_e32 v101, v77
	v_mov_b32_e32 v99, v23
	v_pk_add_f32 v[22:23], v[50:51], v[98:99]
	v_pk_add_f32 v[76:77], v[104:105], v[138:139] neg_lo:[0,1] neg_hi:[0,1]
	v_pk_add_f32 v[0:1], v[82:83], v[0:1]
	v_pk_add_f32 v[22:23], v[100:101], v[22:23]
	v_mov_b32_e32 v107, v77
	v_pk_add_f32 v[76:77], v[108:109], v[140:141] neg_lo:[0,1] neg_hi:[0,1]
	v_pk_add_f32 v[0:1], v[86:87], v[0:1]
	v_pk_add_f32 v[22:23], v[106:107], v[22:23]
	v_mov_b32_e32 v111, v77
	;; [unrolled: 4-line block ×3, first 2 shown]
	v_pk_add_f32 v[0:1], v[94:95], v[0:1]
	v_pk_add_f32 v[22:23], v[112:113], v[22:23]
	ds_write2_b64 v121, v[0:1], v[22:23] offset0:2 offset1:3
	v_pk_mul_f32 v[0:1], v[66:67], s[26:27]
	v_pk_mul_f32 v[78:79], v[68:69], s[36:37]
	v_pk_fma_f32 v[22:23], v[56:57], s[10:11], v[0:1]
	v_pk_fma_f32 v[76:77], v[56:57], s[10:11], v[0:1] neg_lo:[1,0,0] neg_hi:[1,0,0]
	v_pk_fma_f32 v[80:81], v[58:59], s[18:19], v[78:79]
	v_mov_b32_e32 v76, v22
	v_pk_fma_f32 v[82:83], v[58:59], s[18:19], v[78:79] neg_lo:[1,0,0] neg_hi:[1,0,0]
	v_pk_add_f32 v[76:77], v[50:51], v[76:77]
	v_mov_b32_e32 v82, v80
	v_pk_add_f32 v[76:77], v[82:83], v[76:77]
	v_pk_mul_f32 v[82:83], v[70:71], s[40:41]
	v_pk_mul_f32 v[66:67], v[66:67], s[42:43]
	v_pk_fma_f32 v[84:85], v[60:61], s[22:23], v[82:83]
	v_pk_fma_f32 v[86:87], v[60:61], s[22:23], v[82:83] neg_lo:[1,0,0] neg_hi:[1,0,0]
	v_pk_mul_f32 v[68:69], v[68:69], s[30:31]
	v_mov_b32_e32 v86, v84
	v_pk_add_f32 v[76:77], v[86:87], v[76:77]
	v_pk_mul_f32 v[86:87], v[72:73], s[42:43]
	v_pk_fma_f32 v[96:97], v[56:57], s[14:15], v[66:67] neg_lo:[1,0,0] neg_hi:[1,0,0]
	v_pk_fma_f32 v[88:89], v[62:63], s[14:15], v[86:87]
	v_pk_fma_f32 v[90:91], v[62:63], s[14:15], v[86:87] neg_lo:[1,0,0] neg_hi:[1,0,0]
	v_pk_fma_f32 v[0:1], v[56:57], s[10:11], v[0:1] neg_lo:[0,0,1] neg_hi:[0,0,1]
	v_mov_b32_e32 v90, v88
	v_pk_add_f32 v[76:77], v[90:91], v[76:77]
	v_pk_mul_f32 v[90:91], v[74:75], s[38:39]
	v_pk_fma_f32 v[98:99], v[58:59], s[28:29], v[68:69]
	v_pk_fma_f32 v[92:93], v[64:65], s[24:25], v[90:91]
	v_pk_fma_f32 v[94:95], v[64:65], s[24:25], v[90:91] neg_lo:[1,0,0] neg_hi:[1,0,0]
	v_pk_fma_f32 v[100:101], v[58:59], s[28:29], v[68:69] neg_lo:[1,0,0] neg_hi:[1,0,0]
	v_mov_b32_e32 v94, v92
	v_pk_add_f32 v[76:77], v[94:95], v[76:77]
	v_pk_fma_f32 v[94:95], v[56:57], s[14:15], v[66:67]
	v_pk_fma_f32 v[66:67], v[56:57], s[14:15], v[66:67] neg_lo:[0,0,1] neg_hi:[0,0,1]
	v_mov_b32_e32 v96, v94
	v_mov_b32_e32 v67, v95
	v_pk_fma_f32 v[68:69], v[58:59], s[28:29], v[68:69] neg_lo:[0,0,1] neg_hi:[0,0,1]
	v_mov_b32_e32 v1, v23
	v_pk_fma_f32 v[22:23], v[58:59], s[18:19], v[78:79] neg_lo:[0,0,1] neg_hi:[0,0,1]
	v_pk_mul_f32 v[70:71], v[70:71], s[26:27]
	v_pk_add_f32 v[96:97], v[50:51], v[96:97]
	v_mov_b32_e32 v100, v98
	v_pk_add_f32 v[66:67], v[50:51], v[66:67]
	v_mov_b32_e32 v69, v99
	;; [unrolled: 2-line block ×3, first 2 shown]
	v_pk_add_f32 v[96:97], v[100:101], v[96:97]
	v_pk_fma_f32 v[100:101], v[60:61], s[10:11], v[70:71]
	v_pk_fma_f32 v[102:103], v[60:61], s[10:11], v[70:71] neg_lo:[1,0,0] neg_hi:[1,0,0]
	v_pk_add_f32 v[66:67], v[68:69], v[66:67]
	v_pk_fma_f32 v[68:69], v[60:61], s[10:11], v[70:71] neg_lo:[0,0,1] neg_hi:[0,0,1]
	v_pk_add_f32 v[0:1], v[22:23], v[0:1]
	v_pk_fma_f32 v[22:23], v[60:61], s[22:23], v[82:83] neg_lo:[0,0,1] neg_hi:[0,0,1]
	v_pk_mul_f32 v[72:73], v[72:73], s[38:39]
	v_mov_b32_e32 v102, v100
	v_mov_b32_e32 v69, v101
	v_mov_b32_e32 v23, v85
	v_pk_add_f32 v[96:97], v[102:103], v[96:97]
	v_pk_fma_f32 v[102:103], v[62:63], s[24:25], v[72:73]
	v_pk_fma_f32 v[104:105], v[62:63], s[24:25], v[72:73] neg_lo:[1,0,0] neg_hi:[1,0,0]
	v_pk_add_f32 v[66:67], v[68:69], v[66:67]
	v_pk_fma_f32 v[68:69], v[62:63], s[24:25], v[72:73] neg_lo:[0,0,1] neg_hi:[0,0,1]
	v_pk_add_f32 v[0:1], v[22:23], v[0:1]
	v_pk_fma_f32 v[22:23], v[62:63], s[14:15], v[86:87] neg_lo:[0,0,1] neg_hi:[0,0,1]
	v_pk_mul_f32 v[74:75], v[74:75], s[34:35]
	v_mov_b32_e32 v104, v102
	v_mov_b32_e32 v69, v103
	;; [unrolled: 1-line block ×3, first 2 shown]
	v_pk_add_f32 v[96:97], v[104:105], v[96:97]
	v_pk_fma_f32 v[104:105], v[64:65], s[16:17], v[74:75]
	v_pk_fma_f32 v[106:107], v[64:65], s[16:17], v[74:75] neg_lo:[1,0,0] neg_hi:[1,0,0]
	v_pk_add_f32 v[66:67], v[68:69], v[66:67]
	v_pk_fma_f32 v[68:69], v[64:65], s[16:17], v[74:75] neg_lo:[0,0,1] neg_hi:[0,0,1]
	v_pk_add_f32 v[0:1], v[22:23], v[0:1]
	v_pk_fma_f32 v[22:23], v[64:65], s[24:25], v[90:91] neg_lo:[0,0,1] neg_hi:[0,0,1]
	v_mov_b32_e32 v106, v104
	v_mov_b32_e32 v69, v105
	;; [unrolled: 1-line block ×3, first 2 shown]
	v_pk_add_f32 v[96:97], v[106:107], v[96:97]
	v_pk_add_f32 v[66:67], v[68:69], v[66:67]
	;; [unrolled: 1-line block ×3, first 2 shown]
	ds_write2_b64 v121, v[76:77], v[96:97] offset0:4 offset1:5
	ds_write2_b64 v121, v[66:67], v[0:1] offset0:6 offset1:7
	;; [unrolled: 1-line block ×3, first 2 shown]
	v_pk_fma_f32 v[0:1], v[56:57], s[22:23], v[2:3] neg_lo:[0,0,1] neg_hi:[0,0,1]
	v_pk_fma_f32 v[2:3], v[58:59], s[2:3], v[24:25] neg_lo:[0,0,1] neg_hi:[0,0,1]
	v_mov_b32_e32 v1, v21
	v_pk_add_f32 v[0:1], v[50:51], v[0:1]
	v_mov_b32_e32 v3, v27
	v_pk_add_f32 v[0:1], v[2:3], v[0:1]
	v_pk_fma_f32 v[2:3], v[60:61], s[16:17], v[28:29] neg_lo:[0,0,1] neg_hi:[0,0,1]
	s_nop 0
	v_mov_b32_e32 v3, v31
	v_pk_add_f32 v[0:1], v[2:3], v[0:1]
	v_pk_fma_f32 v[2:3], v[62:63], s[10:11], v[32:33] neg_lo:[0,0,1] neg_hi:[0,0,1]
	s_nop 0
	;; [unrolled: 4-line block ×3, first 2 shown]
	v_mov_b32_e32 v3, v147
	v_pk_add_f32 v[0:1], v[2:3], v[0:1]
	ds_write_b64 v121, v[0:1] offset:80
.LBB0_17:
	s_or_b64 exec, exec, s[20:21]
	s_waitcnt lgkmcnt(0)
	s_barrier
	ds_read2_b64 v[24:27], v117 offset1:22
	ds_read2_b64 v[28:31], v117 offset0:99 offset1:121
	ds_read2_b64 v[0:3], v117 offset0:44 offset1:66
	;; [unrolled: 1-line block ×3, first 2 shown]
	v_mov_b32_e32 v70, v48
	v_mov_b32_e32 v71, v48
	;; [unrolled: 1-line block ×12, first 2 shown]
	s_and_saveexec_b64 s[2:3], s[0:1]
	s_cbranch_execz .LBB0_19
; %bb.18:
	ds_read_b64 v[54:55], v117 offset:704
	ds_read_b64 v[52:53], v117 offset:1496
.LBB0_19:
	s_or_b64 exec, exec, s[2:3]
	s_waitcnt lgkmcnt(2)
	v_pk_mul_f32 v[48:49], v[48:49], v[28:29]
	v_pk_mul_f32 v[46:47], v[46:47], v[30:31]
	v_pk_fma_f32 v[74:75], v[70:71], v[28:29], v[48:49] op_sel:[0,0,1] op_sel_hi:[1,1,0]
	v_pk_fma_f32 v[28:29], v[70:71], v[28:29], v[48:49] op_sel:[0,0,1] op_sel_hi:[1,1,0] neg_lo:[0,0,1] neg_hi:[0,0,1]
	s_waitcnt lgkmcnt(0)
	v_mov_b32_e32 v75, v29
	v_pk_add_f32 v[28:29], v[24:25], v[74:75] neg_lo:[0,1] neg_hi:[0,1]
	s_barrier
	v_pk_fma_f32 v[24:25], v[24:25], 2.0, v[28:29] op_sel_hi:[1,0,1] neg_lo:[0,0,1] neg_hi:[0,0,1]
	ds_write2_b64 v119, v[24:25], v[28:29] offset1:11
	v_pk_fma_f32 v[24:25], v[68:69], v[30:31], v[46:47] op_sel:[0,0,1] op_sel_hi:[1,1,0]
	v_pk_fma_f32 v[28:29], v[68:69], v[30:31], v[46:47] op_sel:[0,0,1] op_sel_hi:[1,1,0] neg_lo:[0,0,1] neg_hi:[0,0,1]
	v_pk_mul_f32 v[44:45], v[44:45], v[20:21]
	v_mov_b32_e32 v25, v29
	v_pk_add_f32 v[24:25], v[26:27], v[24:25] neg_lo:[0,1] neg_hi:[0,1]
	v_pk_mul_f32 v[42:43], v[42:43], v[22:23]
	v_pk_fma_f32 v[26:27], v[26:27], 2.0, v[24:25] op_sel_hi:[1,0,1] neg_lo:[0,0,1] neg_hi:[0,0,1]
	ds_write2_b64 v123, v[26:27], v[24:25] offset1:11
	v_pk_fma_f32 v[24:25], v[66:67], v[20:21], v[44:45] op_sel:[0,0,1] op_sel_hi:[1,1,0]
	v_pk_fma_f32 v[20:21], v[66:67], v[20:21], v[44:45] op_sel:[0,0,1] op_sel_hi:[1,1,0] neg_lo:[0,0,1] neg_hi:[0,0,1]
	v_mov_b32_e32 v64, v16
	v_mov_b32_e32 v25, v21
	v_pk_add_f32 v[20:21], v[0:1], v[24:25] neg_lo:[0,1] neg_hi:[0,1]
	v_mov_b32_e32 v65, v16
	v_pk_fma_f32 v[0:1], v[0:1], 2.0, v[20:21] op_sel_hi:[1,0,1] neg_lo:[0,0,1] neg_hi:[0,0,1]
	ds_write2_b64 v122, v[0:1], v[20:21] offset1:11
	v_pk_fma_f32 v[0:1], v[72:73], v[22:23], v[42:43] op_sel:[0,0,1] op_sel_hi:[1,1,0]
	v_pk_fma_f32 v[20:21], v[72:73], v[22:23], v[42:43] op_sel:[0,0,1] op_sel_hi:[1,1,0] neg_lo:[0,0,1] neg_hi:[0,0,1]
	v_mov_b32_e32 v16, v17
	v_mov_b32_e32 v1, v21
	v_pk_add_f32 v[0:1], v[2:3], v[0:1] neg_lo:[0,1] neg_hi:[0,1]
	v_mov_b32_e32 v62, v18
	v_mov_b32_e32 v63, v18
	v_mov_b32_e32 v18, v19
	v_mov_b32_e32 v60, v12
	v_mov_b32_e32 v61, v12
	v_mov_b32_e32 v12, v13
	v_mov_b32_e32 v58, v14
	v_mov_b32_e32 v59, v14
	v_mov_b32_e32 v14, v15
	v_mov_b32_e32 v56, v8
	v_mov_b32_e32 v57, v8
	v_mov_b32_e32 v8, v9
	v_mov_b32_e32 v50, v10
	v_mov_b32_e32 v51, v10
	v_mov_b32_e32 v10, v11
	v_mov_b32_e32 v34, v4
	v_mov_b32_e32 v35, v4
	v_mov_b32_e32 v4, v5
	v_mov_b32_e32 v32, v6
	v_mov_b32_e32 v33, v6
	v_mov_b32_e32 v6, v7
	v_pk_fma_f32 v[2:3], v[2:3], 2.0, v[0:1] op_sel_hi:[1,0,1] neg_lo:[0,0,1] neg_hi:[0,0,1]
	ds_write2_b64 v120, v[2:3], v[0:1] offset1:11
	s_and_saveexec_b64 s[2:3], s[0:1]
	s_cbranch_execz .LBB0_21
; %bb.20:
	v_pk_mul_f32 v[0:1], v[40:41], v[52:53] op_sel:[0,1]
	v_and_b32_e32 v2, 0xff, v118
	v_lshl_add_u32 v20, v2, 3, v116
	v_pk_fma_f32 v[2:3], v[40:41], v[52:53], v[0:1] op_sel:[0,0,1] op_sel_hi:[1,1,0]
	v_pk_fma_f32 v[0:1], v[40:41], v[52:53], v[0:1] op_sel:[0,0,1] op_sel_hi:[1,0,0] neg_lo:[1,0,0] neg_hi:[1,0,0]
	s_nop 0
	v_mov_b32_e32 v3, v1
	v_pk_add_f32 v[0:1], v[54:55], v[2:3] neg_lo:[0,1] neg_hi:[0,1]
	s_nop 0
	v_pk_fma_f32 v[2:3], v[54:55], 2.0, v[0:1] op_sel_hi:[1,0,1] neg_lo:[0,0,1] neg_hi:[0,0,1]
	ds_write2_b64 v20, v[2:3], v[0:1] offset0:176 offset1:187
.LBB0_21:
	s_or_b64 exec, exec, s[2:3]
	s_waitcnt lgkmcnt(0)
	s_barrier
	ds_read2_b64 v[0:3], v117 offset1:22
	ds_read2_b64 v[20:23], v117 offset0:44 offset1:66
	ds_read2_b64 v[24:27], v117 offset0:88 offset1:110
	;; [unrolled: 1-line block ×3, first 2 shown]
	ds_read_b64 v[40:41], v117 offset:1408
	s_waitcnt lgkmcnt(4)
	v_pk_mul_f32 v[16:17], v[16:17], v[2:3]
	s_waitcnt lgkmcnt(3)
	v_pk_mul_f32 v[12:13], v[12:13], v[22:23]
	v_pk_fma_f32 v[42:43], v[64:65], v[2:3], v[16:17] op_sel:[0,0,1] op_sel_hi:[1,1,0]
	v_pk_fma_f32 v[2:3], v[64:65], v[2:3], v[16:17] op_sel:[0,0,1] op_sel_hi:[1,1,0] neg_lo:[0,0,1] neg_hi:[0,0,1]
	v_pk_mul_f32 v[16:17], v[18:19], v[20:21]
	s_waitcnt lgkmcnt(2)
	v_pk_mul_f32 v[8:9], v[8:9], v[26:27]
	v_pk_fma_f32 v[18:19], v[62:63], v[20:21], v[16:17] op_sel:[0,0,1] op_sel_hi:[1,1,0]
	v_pk_fma_f32 v[16:17], v[62:63], v[20:21], v[16:17] op_sel:[0,0,1] op_sel_hi:[1,1,0] neg_lo:[0,0,1] neg_hi:[0,0,1]
	v_pk_fma_f32 v[20:21], v[60:61], v[22:23], v[12:13] op_sel:[0,0,1] op_sel_hi:[1,1,0]
	v_pk_fma_f32 v[12:13], v[60:61], v[22:23], v[12:13] op_sel:[0,0,1] op_sel_hi:[1,1,0] neg_lo:[0,0,1] neg_hi:[0,0,1]
	s_waitcnt lgkmcnt(1)
	v_pk_mul_f32 v[4:5], v[4:5], v[30:31]
	v_mov_b32_e32 v21, v13
	v_pk_mul_f32 v[12:13], v[14:15], v[24:25]
	s_waitcnt lgkmcnt(0)
	v_pk_mul_f32 v[6:7], v[6:7], v[40:41]
	v_pk_fma_f32 v[14:15], v[58:59], v[24:25], v[12:13] op_sel:[0,0,1] op_sel_hi:[1,1,0]
	v_pk_fma_f32 v[12:13], v[58:59], v[24:25], v[12:13] op_sel:[0,0,1] op_sel_hi:[1,1,0] neg_lo:[0,0,1] neg_hi:[0,0,1]
	v_pk_fma_f32 v[22:23], v[32:33], v[40:41], v[6:7] op_sel:[0,0,1] op_sel_hi:[1,1,0]
	v_mov_b32_e32 v15, v13
	v_pk_fma_f32 v[12:13], v[56:57], v[26:27], v[8:9] op_sel:[0,0,1] op_sel_hi:[1,1,0]
	v_pk_fma_f32 v[8:9], v[56:57], v[26:27], v[8:9] op_sel:[0,0,1] op_sel_hi:[1,1,0] neg_lo:[0,0,1] neg_hi:[0,0,1]
	v_pk_fma_f32 v[6:7], v[32:33], v[40:41], v[6:7] op_sel:[0,0,1] op_sel_hi:[1,1,0] neg_lo:[0,0,1] neg_hi:[0,0,1]
	v_mov_b32_e32 v13, v9
	v_pk_mul_f32 v[8:9], v[10:11], v[28:29]
	v_mov_b32_e32 v43, v3
	v_pk_fma_f32 v[10:11], v[50:51], v[28:29], v[8:9] op_sel:[0,0,1] op_sel_hi:[1,1,0]
	v_pk_fma_f32 v[8:9], v[50:51], v[28:29], v[8:9] op_sel:[0,0,1] op_sel_hi:[1,1,0] neg_lo:[0,0,1] neg_hi:[0,0,1]
	v_mov_b32_e32 v23, v7
	v_mov_b32_e32 v11, v9
	v_pk_fma_f32 v[8:9], v[34:35], v[30:31], v[4:5] op_sel:[0,0,1] op_sel_hi:[1,1,0]
	v_pk_fma_f32 v[4:5], v[34:35], v[30:31], v[4:5] op_sel:[0,0,1] op_sel_hi:[1,1,0] neg_lo:[0,0,1] neg_hi:[0,0,1]
	v_mov_b32_e32 v2, v3
	v_mov_b32_e32 v3, v18
	v_mov_b32_e32 v6, v7
	v_mov_b32_e32 v7, v8
	s_mov_b32 s2, 0x3f248dbb
	v_mov_b32_e32 v9, v5
	v_pk_add_f32 v[2:3], v[2:3], v[6:7] neg_lo:[0,1] neg_hi:[0,1]
	v_mov_b32_e32 v6, v17
	v_mov_b32_e32 v7, v42
	;; [unrolled: 1-line block ×4, first 2 shown]
	s_mov_b32 s3, 0x3f7c1c5c
	v_mov_b32_e32 v19, v17
	v_pk_add_f32 v[4:5], v[6:7], v[4:5] neg_lo:[0,1] neg_hi:[0,1]
	s_mov_b32 s10, s3
	s_mov_b32 s11, s2
	v_pk_add_f32 v[26:27], v[18:19], v[8:9]
	v_pk_add_f32 v[6:7], v[20:21], v[10:11] neg_lo:[0,1] neg_hi:[0,1]
	s_mov_b32 s0, 0x3f5db3d7
	v_pk_mul_f32 v[8:9], v[4:5], s[10:11]
	v_pk_add_f32 v[24:25], v[42:43], v[22:23]
	v_pk_add_f32 v[28:29], v[20:21], v[10:11]
	v_pk_mul_f32 v[6:7], v[6:7], s[0:1] op_sel_hi:[1,0]
	v_pk_fma_f32 v[8:9], v[2:3], s[2:3], v[8:9]
	v_pk_add_f32 v[10:11], v[14:15], v[12:13] neg_lo:[0,1] neg_hi:[0,1]
	s_mov_b32 s10, 0x3eaf1d44
	v_pk_add_f32 v[30:31], v[26:27], v[24:25]
	v_pk_add_f32 v[8:9], v[6:7], v[8:9] op_sel:[1,0] op_sel_hi:[0,1]
	v_pk_mul_f32 v[16:17], v[10:11], s[10:11] op_sel_hi:[1,0]
	s_mov_b32 s14, 0x3f441b7d
	v_pk_add_f32 v[32:33], v[28:29], v[30:31]
	v_pk_add_f32 v[8:9], v[16:17], v[8:9] op_sel:[1,0] op_sel_hi:[0,1]
	v_pk_fma_f32 v[16:17], v[24:25], s[14:15], v[0:1] op_sel_hi:[1,0,1]
	s_mov_b32 s16, 0x3e31d0d4
	v_pk_add_f32 v[32:33], v[14:15], v[32:33]
	v_pk_fma_f32 v[16:17], v[26:27], s[16:17], v[16:17] op_sel_hi:[1,0,1]
	v_pk_add_f32 v[32:33], v[12:13], v[32:33]
	v_pk_fma_f32 v[16:17], v[28:29], 0.5, v[16:17] op_sel_hi:[1,0,1] neg_lo:[1,0,0] neg_hi:[1,0,0]
	v_pk_add_f32 v[12:13], v[14:15], v[12:13]
	s_mov_b32 s18, 0x3f708fb2
	v_pk_fma_f32 v[14:15], v[12:13], s[18:19], v[16:17] op_sel_hi:[1,0,1] neg_lo:[1,0,0] neg_hi:[1,0,0]
	v_mov_b32_e32 v18, v2
	v_pk_add_f32 v[16:17], v[14:15], v[8:9] neg_lo:[0,1] neg_hi:[0,1]
	v_pk_add_f32 v[14:15], v[14:15], v[8:9]
	v_mov_b32_e32 v19, v5
	v_fma_f32 v14, 2.0, v8, v16
	v_mov_b32_e32 v17, v15
	v_fmac_f32_e32 v15, -2.0, v9
	v_pk_mul_f32 v[8:9], v[10:11], s[2:3] op_sel_hi:[1,0]
	s_mov_b32 s2, s3
	v_pk_fma_f32 v[22:23], v[12:13], s[14:15], v[0:1] op_sel_hi:[1,0,1]
	v_pk_fma_f32 v[8:9], v[18:19], s[2:3], v[8:9] op_sel:[0,0,1] op_sel_hi:[1,0,0] neg_lo:[0,0,1] neg_hi:[0,0,1]
	v_pk_fma_f32 v[22:23], v[24:25], s[16:17], v[22:23] op_sel_hi:[1,0,1]
	v_pk_add_f32 v[8:9], v[8:9], v[6:7] op_sel:[0,1] op_sel_hi:[1,0] neg_lo:[0,1] neg_hi:[0,1]
	v_mov_b32_e32 v20, v4
	v_mov_b32_e32 v21, v3
	v_pk_fma_f32 v[22:23], v[28:29], 0.5, v[22:23] op_sel_hi:[1,0,1] neg_lo:[1,0,0] neg_hi:[1,0,0]
	v_pk_add_f32 v[32:33], v[32:33], v[0:1]
	v_pk_fma_f32 v[8:9], v[20:21], s[10:11], v[8:9] op_sel_hi:[1,0,1]
	v_pk_fma_f32 v[22:23], v[26:27], s[18:19], v[22:23] op_sel_hi:[1,0,1] neg_lo:[1,0,0] neg_hi:[1,0,0]
	ds_write_b64 v37, v[32:33]
	v_pk_add_f32 v[32:33], v[22:23], v[8:9] neg_lo:[0,1] neg_hi:[0,1]
	v_pk_add_f32 v[22:23], v[22:23], v[8:9]
	s_nop 0
	v_mov_b32_e32 v33, v23
	ds_write2_b64 v37, v[16:17], v[32:33] offset0:22 offset1:44
	v_mov_b32_e32 v16, v5
	v_mov_b32_e32 v17, v2
	v_pk_add_f32 v[16:17], v[10:11], v[16:17]
	v_mov_b32_e32 v2, v3
	v_mov_b32_e32 v3, v4
	v_fma_f32 v22, 2.0, v8, v32
	v_fmac_f32_e32 v23, -2.0, v9
	v_pk_add_f32 v[8:9], v[28:29], v[0:1]
	v_pk_add_f32 v[2:3], v[16:17], v[2:3] neg_lo:[0,1] neg_hi:[0,1]
	v_pk_add_f32 v[4:5], v[12:13], v[30:31]
	v_pk_mul_f32 v[2:3], v[2:3], s[0:1] op_sel_hi:[1,0]
	v_pk_fma_f32 v[4:5], v[4:5], 0.5, v[8:9] op_sel_hi:[1,0,1] neg_lo:[1,0,0] neg_hi:[1,0,0]
	v_pk_fma_f32 v[0:1], v[26:27], s[14:15], v[0:1] op_sel_hi:[1,0,1]
	v_pk_add_f32 v[8:9], v[4:5], v[2:3] op_sel:[0,1] op_sel_hi:[1,0] neg_lo:[0,1] neg_hi:[0,1]
	v_pk_add_f32 v[4:5], v[4:5], v[2:3] op_sel:[0,1] op_sel_hi:[1,0]
	s_mov_b32 s0, 0xbf248dbb
	v_fma_f32 v4, 2.0, v3, v8
	v_mov_b32_e32 v9, v5
	v_fmac_f32_e32 v5, -2.0, v2
	v_pk_mul_f32 v[2:3], v[10:11], s[2:3] op_sel_hi:[1,0]
	v_pk_fma_f32 v[0:1], v[12:13], s[16:17], v[0:1] op_sel_hi:[1,0,1]
	v_pk_fma_f32 v[2:3], v[20:21], s[0:1], v[2:3] op_sel:[0,0,1] op_sel_hi:[1,0,0] neg_lo:[0,0,1] neg_hi:[0,0,1]
	v_pk_fma_f32 v[0:1], v[28:29], 0.5, v[0:1] op_sel_hi:[1,0,1] neg_lo:[1,0,0] neg_hi:[1,0,0]
	v_pk_add_f32 v[2:3], v[6:7], v[2:3] op_sel:[1,0] op_sel_hi:[0,1]
	v_pk_fma_f32 v[2:3], v[18:19], s[10:11], v[2:3] op_sel_hi:[1,0,1]
	v_pk_fma_f32 v[0:1], v[24:25], s[18:19], v[0:1] op_sel_hi:[1,0,1] neg_lo:[1,0,0] neg_hi:[1,0,0]
	s_nop 0
	v_pk_add_f32 v[6:7], v[0:1], v[2:3] neg_lo:[0,1] neg_hi:[0,1]
	v_pk_add_f32 v[0:1], v[0:1], v[2:3]
	s_nop 0
	v_mov_b32_e32 v7, v1
	v_fma_f32 v0, 2.0, v2, v6
	v_fmac_f32_e32 v1, -2.0, v3
	ds_write2_b64 v37, v[8:9], v[6:7] offset0:66 offset1:88
	ds_write2_b64 v37, v[0:1], v[4:5] offset0:110 offset1:132
	;; [unrolled: 1-line block ×3, first 2 shown]
	s_waitcnt lgkmcnt(0)
	s_barrier
	s_and_b64 exec, exec, vcc
	s_cbranch_execz .LBB0_23
; %bb.22:
	global_load_dwordx2 v[8:9], v39, s[8:9]
	global_load_dwordx2 v[10:11], v39, s[8:9] offset:144
	global_load_dwordx2 v[12:13], v39, s[8:9] offset:288
	;; [unrolled: 1-line block ×4, first 2 shown]
	ds_read_b64 v[22:23], v37
	ds_read2_b64 v[0:3], v37 offset0:18 offset1:36
	ds_read2_b64 v[4:7], v37 offset0:54 offset1:72
	global_load_dwordx2 v[26:27], v39, s[8:9] offset:720
	global_load_dwordx2 v[28:29], v39, s[8:9] offset:864
	;; [unrolled: 1-line block ×3, first 2 shown]
	v_mad_u64_u32 v[20:21], s[0:1], s6, v38, 0
	v_mad_u64_u32 v[24:25], s[2:3], s4, v36, 0
	v_mov_b32_e32 v32, v21
	v_mov_b32_e32 v34, v25
	v_mad_u64_u32 v[32:33], s[6:7], s7, v38, v[32:33]
	v_mad_u64_u32 v[34:35], s[6:7], s5, v36, v[34:35]
	v_mov_b32_e32 v25, v34
	v_mov_b32_e32 v16, s12
	;; [unrolled: 1-line block ×4, first 2 shown]
	v_lshl_add_u64 v[16:17], v[20:21], 3, v[16:17]
	v_mov_b32_e32 v40, 0x90
	v_lshl_add_u64 v[16:17], v[24:25], 3, v[16:17]
	s_mov_b32 s0, 0xa052bf5b
	s_mul_i32 s2, s5, 0x90
	v_mad_u64_u32 v[20:21], s[6:7], s4, v40, v[16:17]
	s_mov_b32 s1, 0x3f74afd6
	v_add_u32_e32 v21, s2, v21
	v_mad_u64_u32 v[24:25], s[6:7], s4, v40, v[20:21]
	v_add_u32_e32 v25, s2, v25
	v_mad_u64_u32 v[32:33], s[6:7], s4, v40, v[24:25]
	v_add_u32_e32 v33, s2, v33
	s_waitcnt vmcnt(7) lgkmcnt(2)
	v_mul_f32_e32 v34, v23, v9
	s_waitcnt vmcnt(6) lgkmcnt(1)
	v_mul_f32_e32 v35, v1, v11
	v_mul_f32_e32 v9, v22, v9
	v_mul_f32_e32 v11, v0, v11
	s_waitcnt vmcnt(4) lgkmcnt(0)
	v_mul_f32_e32 v38, v5, v15
	v_mul_f32_e32 v15, v4, v15
	v_fmac_f32_e32 v34, v22, v8
	v_fmac_f32_e32 v35, v0, v10
	v_fma_f32 v8, v8, v23, -v9
	v_fma_f32 v9, v10, v1, -v11
	v_fmac_f32_e32 v38, v4, v14
	v_fma_f32 v22, v14, v5, -v15
	v_cvt_f64_f32_e32 v[0:1], v34
	v_cvt_f64_f32_e32 v[4:5], v35
	global_load_dwordx2 v[34:35], v39, s[8:9] offset:1152
	v_mul_f32_e32 v36, v3, v13
	v_mul_f32_e32 v13, v2, v13
	v_fmac_f32_e32 v36, v2, v12
	v_fma_f32 v12, v12, v3, -v13
	v_cvt_f64_f32_e32 v[2:3], v8
	v_cvt_f64_f32_e32 v[10:11], v36
	v_mul_f64 v[0:1], v[0:1], s[0:1]
	v_mul_f64 v[2:3], v[2:3], s[0:1]
	;; [unrolled: 1-line block ×4, first 2 shown]
	v_cvt_f64_f32_e32 v[8:9], v9
	v_cvt_f64_f32_e32 v[12:13], v12
	;; [unrolled: 1-line block ×4, first 2 shown]
	v_cvt_f32_f64_e32 v0, v[0:1]
	v_cvt_f32_f64_e32 v1, v[2:3]
	;; [unrolled: 1-line block ×4, first 2 shown]
	global_load_dwordx2 v[10:11], v39, s[8:9] offset:1296
	v_mul_f64 v[8:9], v[8:9], s[0:1]
	v_mul_f64 v[12:13], v[12:13], s[0:1]
	;; [unrolled: 1-line block ×4, first 2 shown]
	v_cvt_f32_f64_e32 v3, v[8:9]
	v_cvt_f32_f64_e32 v5, v[12:13]
	;; [unrolled: 1-line block ×4, first 2 shown]
	global_store_dwordx2 v[16:17], v[0:1], off
	global_store_dwordx2 v[20:21], v[2:3], off
	;; [unrolled: 1-line block ×4, first 2 shown]
	s_waitcnt vmcnt(9)
	v_mul_f32_e32 v0, v7, v19
	v_fmac_f32_e32 v0, v6, v18
	v_cvt_f64_f32_e32 v[0:1], v0
	v_mul_f64 v[0:1], v[0:1], s[0:1]
	v_cvt_f32_f64_e32 v4, v[0:1]
	v_mul_f32_e32 v0, v6, v19
	v_fma_f32 v0, v18, v7, -v0
	global_load_dwordx2 v[6:7], v39, s[8:9] offset:1440
	v_cvt_f64_f32_e32 v[0:1], v0
	v_mul_f64 v[0:1], v[0:1], s[0:1]
	v_cvt_f32_f64_e32 v5, v[0:1]
	ds_read2_b64 v[0:3], v37 offset0:90 offset1:108
	v_mad_u64_u32 v[8:9], s[6:7], s4, v40, v[32:33]
	v_add_u32_e32 v9, s2, v9
	global_store_dwordx2 v[8:9], v[4:5], off
	s_waitcnt vmcnt(10) lgkmcnt(0)
	v_mul_f32_e32 v4, v1, v27
	v_fmac_f32_e32 v4, v0, v26
	v_mul_f32_e32 v0, v0, v27
	v_fma_f32 v0, v26, v1, -v0
	v_cvt_f64_f32_e32 v[4:5], v4
	v_cvt_f64_f32_e32 v[0:1], v0
	v_mul_f64 v[4:5], v[4:5], s[0:1]
	v_mul_f64 v[0:1], v[0:1], s[0:1]
	v_cvt_f32_f64_e32 v4, v[4:5]
	v_cvt_f32_f64_e32 v5, v[0:1]
	s_waitcnt vmcnt(9)
	v_mul_f32_e32 v0, v3, v29
	v_fmac_f32_e32 v0, v2, v28
	v_mad_u64_u32 v[8:9], s[6:7], s4, v40, v[8:9]
	v_cvt_f64_f32_e32 v[0:1], v0
	v_add_u32_e32 v9, s2, v9
	v_mul_f64 v[0:1], v[0:1], s[0:1]
	global_store_dwordx2 v[8:9], v[4:5], off
	v_cvt_f32_f64_e32 v4, v[0:1]
	v_mul_f32_e32 v0, v2, v29
	v_fma_f32 v0, v28, v3, -v0
	v_cvt_f64_f32_e32 v[0:1], v0
	v_mul_f64 v[0:1], v[0:1], s[0:1]
	v_cvt_f32_f64_e32 v5, v[0:1]
	ds_read2_b64 v[0:3], v37 offset0:126 offset1:144
	v_mad_u64_u32 v[8:9], s[6:7], s4, v40, v[8:9]
	v_add_u32_e32 v9, s2, v9
	global_store_dwordx2 v[8:9], v[4:5], off
	s_waitcnt vmcnt(10) lgkmcnt(0)
	v_mul_f32_e32 v4, v1, v31
	v_fmac_f32_e32 v4, v0, v30
	v_mul_f32_e32 v0, v0, v31
	v_fma_f32 v0, v30, v1, -v0
	v_cvt_f64_f32_e32 v[4:5], v4
	v_cvt_f64_f32_e32 v[0:1], v0
	v_mul_f64 v[4:5], v[4:5], s[0:1]
	v_mul_f64 v[0:1], v[0:1], s[0:1]
	v_cvt_f32_f64_e32 v4, v[4:5]
	v_cvt_f32_f64_e32 v5, v[0:1]
	s_waitcnt vmcnt(9)
	v_mul_f32_e32 v0, v3, v35
	v_fmac_f32_e32 v0, v2, v34
	v_mad_u64_u32 v[8:9], s[6:7], s4, v40, v[8:9]
	v_cvt_f64_f32_e32 v[0:1], v0
	v_add_u32_e32 v9, s2, v9
	v_mul_f64 v[0:1], v[0:1], s[0:1]
	global_store_dwordx2 v[8:9], v[4:5], off
	v_cvt_f32_f64_e32 v4, v[0:1]
	v_mul_f32_e32 v0, v2, v35
	v_fma_f32 v0, v34, v3, -v0
	v_cvt_f64_f32_e32 v[0:1], v0
	v_mul_f64 v[0:1], v[0:1], s[0:1]
	v_cvt_f32_f64_e32 v5, v[0:1]
	ds_read2_b64 v[0:3], v37 offset0:162 offset1:180
	v_mad_u64_u32 v[8:9], s[6:7], s4, v40, v[8:9]
	v_add_u32_e32 v9, s2, v9
	global_store_dwordx2 v[8:9], v[4:5], off
	s_waitcnt vmcnt(10) lgkmcnt(0)
	v_mul_f32_e32 v4, v1, v11
	v_fmac_f32_e32 v4, v0, v10
	v_mul_f32_e32 v0, v0, v11
	v_fma_f32 v0, v10, v1, -v0
	v_cvt_f64_f32_e32 v[4:5], v4
	v_cvt_f64_f32_e32 v[0:1], v0
	v_mul_f64 v[4:5], v[4:5], s[0:1]
	v_mul_f64 v[0:1], v[0:1], s[0:1]
	v_cvt_f32_f64_e32 v4, v[4:5]
	v_cvt_f32_f64_e32 v5, v[0:1]
	v_mad_u64_u32 v[0:1], s[6:7], s4, v40, v[8:9]
	v_add_u32_e32 v1, s2, v1
	global_store_dwordx2 v[0:1], v[4:5], off
	s_waitcnt vmcnt(6)
	v_mul_f32_e32 v4, v3, v7
	v_fmac_f32_e32 v4, v2, v6
	v_mul_f32_e32 v2, v2, v7
	v_fma_f32 v2, v6, v3, -v2
	v_cvt_f64_f32_e32 v[4:5], v4
	v_cvt_f64_f32_e32 v[2:3], v2
	v_mul_f64 v[4:5], v[4:5], s[0:1]
	v_mul_f64 v[2:3], v[2:3], s[0:1]
	v_mad_u64_u32 v[0:1], s[0:1], s4, v40, v[0:1]
	v_cvt_f32_f64_e32 v4, v[4:5]
	v_cvt_f32_f64_e32 v5, v[2:3]
	v_add_u32_e32 v1, s2, v1
	global_store_dwordx2 v[0:1], v[4:5], off
.LBB0_23:
	s_endpgm
	.section	.rodata,"a",@progbits
	.p2align	6, 0x0
	.amdhsa_kernel bluestein_single_fwd_len198_dim1_sp_op_CI_CI
		.amdhsa_group_segment_fixed_size 7920
		.amdhsa_private_segment_fixed_size 0
		.amdhsa_kernarg_size 104
		.amdhsa_user_sgpr_count 2
		.amdhsa_user_sgpr_dispatch_ptr 0
		.amdhsa_user_sgpr_queue_ptr 0
		.amdhsa_user_sgpr_kernarg_segment_ptr 1
		.amdhsa_user_sgpr_dispatch_id 0
		.amdhsa_user_sgpr_kernarg_preload_length 0
		.amdhsa_user_sgpr_kernarg_preload_offset 0
		.amdhsa_user_sgpr_private_segment_size 0
		.amdhsa_uses_dynamic_stack 0
		.amdhsa_enable_private_segment 0
		.amdhsa_system_sgpr_workgroup_id_x 1
		.amdhsa_system_sgpr_workgroup_id_y 0
		.amdhsa_system_sgpr_workgroup_id_z 0
		.amdhsa_system_sgpr_workgroup_info 0
		.amdhsa_system_vgpr_workitem_id 0
		.amdhsa_next_free_vgpr 150
		.amdhsa_next_free_sgpr 44
		.amdhsa_accum_offset 152
		.amdhsa_reserve_vcc 1
		.amdhsa_float_round_mode_32 0
		.amdhsa_float_round_mode_16_64 0
		.amdhsa_float_denorm_mode_32 3
		.amdhsa_float_denorm_mode_16_64 3
		.amdhsa_dx10_clamp 1
		.amdhsa_ieee_mode 1
		.amdhsa_fp16_overflow 0
		.amdhsa_tg_split 0
		.amdhsa_exception_fp_ieee_invalid_op 0
		.amdhsa_exception_fp_denorm_src 0
		.amdhsa_exception_fp_ieee_div_zero 0
		.amdhsa_exception_fp_ieee_overflow 0
		.amdhsa_exception_fp_ieee_underflow 0
		.amdhsa_exception_fp_ieee_inexact 0
		.amdhsa_exception_int_div_zero 0
	.end_amdhsa_kernel
	.text
.Lfunc_end0:
	.size	bluestein_single_fwd_len198_dim1_sp_op_CI_CI, .Lfunc_end0-bluestein_single_fwd_len198_dim1_sp_op_CI_CI
                                        ; -- End function
	.section	.AMDGPU.csdata,"",@progbits
; Kernel info:
; codeLenInByte = 9716
; NumSgprs: 50
; NumVgprs: 150
; NumAgprs: 0
; TotalNumVgprs: 150
; ScratchSize: 0
; MemoryBound: 0
; FloatMode: 240
; IeeeMode: 1
; LDSByteSize: 7920 bytes/workgroup (compile time only)
; SGPRBlocks: 6
; VGPRBlocks: 18
; NumSGPRsForWavesPerEU: 50
; NumVGPRsForWavesPerEU: 150
; AccumOffset: 152
; Occupancy: 3
; WaveLimiterHint : 1
; COMPUTE_PGM_RSRC2:SCRATCH_EN: 0
; COMPUTE_PGM_RSRC2:USER_SGPR: 2
; COMPUTE_PGM_RSRC2:TRAP_HANDLER: 0
; COMPUTE_PGM_RSRC2:TGID_X_EN: 1
; COMPUTE_PGM_RSRC2:TGID_Y_EN: 0
; COMPUTE_PGM_RSRC2:TGID_Z_EN: 0
; COMPUTE_PGM_RSRC2:TIDIG_COMP_CNT: 0
; COMPUTE_PGM_RSRC3_GFX90A:ACCUM_OFFSET: 37
; COMPUTE_PGM_RSRC3_GFX90A:TG_SPLIT: 0
	.text
	.p2alignl 6, 3212836864
	.fill 256, 4, 3212836864
	.type	__hip_cuid_60d8d35a021d0f28,@object ; @__hip_cuid_60d8d35a021d0f28
	.section	.bss,"aw",@nobits
	.globl	__hip_cuid_60d8d35a021d0f28
__hip_cuid_60d8d35a021d0f28:
	.byte	0                               ; 0x0
	.size	__hip_cuid_60d8d35a021d0f28, 1

	.ident	"AMD clang version 19.0.0git (https://github.com/RadeonOpenCompute/llvm-project roc-6.4.0 25133 c7fe45cf4b819c5991fe208aaa96edf142730f1d)"
	.section	".note.GNU-stack","",@progbits
	.addrsig
	.addrsig_sym __hip_cuid_60d8d35a021d0f28
	.amdgpu_metadata
---
amdhsa.kernels:
  - .agpr_count:     0
    .args:
      - .actual_access:  read_only
        .address_space:  global
        .offset:         0
        .size:           8
        .value_kind:     global_buffer
      - .actual_access:  read_only
        .address_space:  global
        .offset:         8
        .size:           8
        .value_kind:     global_buffer
      - .actual_access:  read_only
        .address_space:  global
        .offset:         16
        .size:           8
        .value_kind:     global_buffer
      - .actual_access:  read_only
        .address_space:  global
        .offset:         24
        .size:           8
        .value_kind:     global_buffer
      - .actual_access:  read_only
        .address_space:  global
        .offset:         32
        .size:           8
        .value_kind:     global_buffer
      - .offset:         40
        .size:           8
        .value_kind:     by_value
      - .address_space:  global
        .offset:         48
        .size:           8
        .value_kind:     global_buffer
      - .address_space:  global
        .offset:         56
        .size:           8
        .value_kind:     global_buffer
      - .address_space:  global
        .offset:         64
        .size:           8
        .value_kind:     global_buffer
      - .address_space:  global
        .offset:         72
        .size:           8
        .value_kind:     global_buffer
      - .offset:         80
        .size:           4
        .value_kind:     by_value
      - .address_space:  global
        .offset:         88
        .size:           8
        .value_kind:     global_buffer
      - .address_space:  global
        .offset:         96
        .size:           8
        .value_kind:     global_buffer
    .group_segment_fixed_size: 7920
    .kernarg_segment_align: 8
    .kernarg_segment_size: 104
    .language:       OpenCL C
    .language_version:
      - 2
      - 0
    .max_flat_workgroup_size: 110
    .name:           bluestein_single_fwd_len198_dim1_sp_op_CI_CI
    .private_segment_fixed_size: 0
    .sgpr_count:     50
    .sgpr_spill_count: 0
    .symbol:         bluestein_single_fwd_len198_dim1_sp_op_CI_CI.kd
    .uniform_work_group_size: 1
    .uses_dynamic_stack: false
    .vgpr_count:     150
    .vgpr_spill_count: 0
    .wavefront_size: 64
amdhsa.target:   amdgcn-amd-amdhsa--gfx950
amdhsa.version:
  - 1
  - 2
...

	.end_amdgpu_metadata
